;; amdgpu-corpus repo=ROCm/rocFFT kind=compiled arch=gfx906 opt=O3
	.text
	.amdgcn_target "amdgcn-amd-amdhsa--gfx906"
	.amdhsa_code_object_version 6
	.protected	bluestein_single_back_len3645_dim1_dp_op_CI_CI ; -- Begin function bluestein_single_back_len3645_dim1_dp_op_CI_CI
	.globl	bluestein_single_back_len3645_dim1_dp_op_CI_CI
	.p2align	8
	.type	bluestein_single_back_len3645_dim1_dp_op_CI_CI,@function
bluestein_single_back_len3645_dim1_dp_op_CI_CI: ; @bluestein_single_back_len3645_dim1_dp_op_CI_CI
; %bb.0:
	s_load_dwordx4 s[12:15], s[4:5], 0x28
	s_mov_b64 s[30:31], s[2:3]
	v_mul_u32_u24_e32 v3, 0x10e, v0
	s_mov_b64 s[28:29], s[0:1]
	v_add_u32_sdwa v1, s6, v3 dst_sel:DWORD dst_unused:UNUSED_PAD src0_sel:DWORD src1_sel:WORD_1
	v_mov_b32_e32 v2, 0
	s_add_u32 s28, s28, s7
	s_waitcnt lgkmcnt(0)
	v_cmp_gt_u64_e32 vcc, s[12:13], v[1:2]
	s_addc_u32 s29, s29, 0
	s_and_saveexec_b64 s[0:1], vcc
	s_cbranch_execz .LBB0_2
; %bb.1:
	s_load_dwordx4 s[8:11], s[4:5], 0x0
	s_load_dwordx4 s[20:23], s[4:5], 0x18
	s_load_dwordx2 s[12:13], s[4:5], 0x38
	s_movk_i32 s16, 0xf3
	v_mul_lo_u16_sdwa v2, v3, s16 dst_sel:DWORD dst_unused:UNUSED_PAD src0_sel:WORD_1 src1_sel:DWORD
	v_sub_u16_e32 v126, v0, v2
	s_waitcnt lgkmcnt(0)
	s_load_dwordx4 s[0:3], s[22:23], 0x0
	v_lshlrev_b32_e32 v125, 4, v126
	s_movk_i32 s22, 0x1000
	s_mov_b32 s19, 0xbfee6f0e
                                        ; kill: killed $sgpr8_sgpr9
	s_movk_i32 s23, 0x89
	s_waitcnt lgkmcnt(0)
	v_mad_u64_u32 v[4:5], s[4:5], s2, v1, 0
	v_mov_b32_e32 v0, v5
	v_mad_u64_u32 v[2:3], s[2:3], s3, v1, v[0:1]
	v_mov_b32_e32 v5, v2
	buffer_store_dword v4, off, s[28:31], 0 offset:16 ; 4-byte Folded Spill
	s_nop 0
	buffer_store_dword v5, off, s[28:31], 0 offset:20 ; 4-byte Folded Spill
	global_load_dwordx4 v[10:13], v125, s[8:9]
	s_load_dwordx4 s[4:7], s[20:21], 0x0
	s_movk_i32 s21, 0x2000
	s_movk_i32 s20, 0x4000
	s_waitcnt lgkmcnt(0)
	v_mad_u64_u32 v[2:3], s[2:3], s6, v1, 0
	s_movk_i32 s6, 0x5000
	v_mov_b32_e32 v0, v3
	v_mad_u64_u32 v[0:1], s[2:3], s7, v1, v[0:1]
	v_mov_b32_e32 v3, v0
	v_mad_u64_u32 v[0:1], s[2:3], s4, v126, 0
	v_mad_u64_u32 v[4:5], s[2:3], s5, v126, v[1:2]
	v_lshlrev_b64 v[2:3], 4, v[2:3]
	s_movk_i32 s2, 0x2d9
	v_mov_b32_e32 v1, v4
	v_add_co_u32_e32 v2, vcc, s14, v2
	v_mov_b32_e32 v4, s15
	v_lshlrev_b64 v[0:1], 4, v[0:1]
	v_addc_co_u32_e32 v3, vcc, v4, v3, vcc
	v_add_co_u32_e32 v8, vcc, v2, v0
	v_addc_co_u32_e32 v9, vcc, v3, v1, vcc
	global_load_dwordx4 v[0:3], v[8:9], off
	v_add_co_u32_e32 v33, vcc, s8, v125
	v_mov_b32_e32 v4, s9
	v_addc_co_u32_e32 v34, vcc, 0, v4, vcc
	v_add_co_u32_e32 v35, vcc, s2, v126
	s_mul_i32 s2, s5, 0x2d90
	s_mul_hi_u32 s3, s4, 0x2d90
	s_add_i32 s2, s3, s2
	s_mul_i32 s3, s4, 0x2d90
	v_add_co_u32_e32 v8, vcc, s3, v8
	s_mul_i32 s5, s5, 0xffff58f0
	s_sub_i32 s5, s5, s4
	s_mov_b32 s15, 0xbfe2cf23
	s_waitcnt vmcnt(1)
	buffer_store_dword v10, off, s[28:31], 0 offset:136 ; 4-byte Folded Spill
	s_nop 0
	buffer_store_dword v11, off, s[28:31], 0 offset:140 ; 4-byte Folded Spill
	buffer_store_dword v12, off, s[28:31], 0 offset:144 ; 4-byte Folded Spill
	;; [unrolled: 1-line block ×3, first 2 shown]
	s_waitcnt vmcnt(4)
	v_mul_f64 v[4:5], v[2:3], v[12:13]
	v_fma_f64 v[4:5], v[0:1], v[10:11], v[4:5]
	v_mul_f64 v[0:1], v[0:1], v[12:13]
	v_fma_f64 v[6:7], v[2:3], v[10:11], -v[0:1]
	v_mov_b32_e32 v0, s2
	v_addc_co_u32_e32 v9, vcc, v9, v0, vcc
	global_load_dwordx4 v[0:3], v[8:9], off
	ds_write_b128 v125, v[4:7]
	v_add_co_u32_e32 v4, vcc, s21, v33
	v_addc_co_u32_e32 v5, vcc, 0, v34, vcc
	global_load_dwordx4 v[10:13], v[4:5], off offset:3472
	v_add_co_u32_e32 v8, vcc, s3, v8
	s_waitcnt vmcnt(0)
	buffer_store_dword v10, off, s[28:31], 0 offset:168 ; 4-byte Folded Spill
	s_nop 0
	buffer_store_dword v11, off, s[28:31], 0 offset:172 ; 4-byte Folded Spill
	buffer_store_dword v12, off, s[28:31], 0 offset:176 ; 4-byte Folded Spill
	;; [unrolled: 1-line block ×3, first 2 shown]
	v_mul_f64 v[4:5], v[2:3], v[12:13]
	v_fma_f64 v[4:5], v[0:1], v[10:11], v[4:5]
	v_mul_f64 v[0:1], v[0:1], v[12:13]
	v_fma_f64 v[6:7], v[2:3], v[10:11], -v[0:1]
	v_mov_b32_e32 v0, s2
	v_addc_co_u32_e32 v9, vcc, v9, v0, vcc
	global_load_dwordx4 v[0:3], v[8:9], off
	ds_write_b128 v125, v[4:7] offset:11664
	v_add_co_u32_e32 v4, vcc, s6, v33
	v_addc_co_u32_e32 v5, vcc, 0, v34, vcc
	global_load_dwordx4 v[10:13], v[4:5], off offset:2848
	v_add_co_u32_e32 v8, vcc, s3, v8
	s_mov_b32 s6, 0x8000
	s_waitcnt vmcnt(0)
	buffer_store_dword v10, off, s[28:31], 0 offset:200 ; 4-byte Folded Spill
	s_nop 0
	buffer_store_dword v11, off, s[28:31], 0 offset:204 ; 4-byte Folded Spill
	buffer_store_dword v12, off, s[28:31], 0 offset:208 ; 4-byte Folded Spill
	;; [unrolled: 1-line block ×3, first 2 shown]
	v_mul_f64 v[4:5], v[2:3], v[12:13]
	v_fma_f64 v[4:5], v[0:1], v[10:11], v[4:5]
	v_mul_f64 v[0:1], v[0:1], v[12:13]
	v_fma_f64 v[6:7], v[2:3], v[10:11], -v[0:1]
	v_mov_b32_e32 v0, s2
	v_addc_co_u32_e32 v9, vcc, v9, v0, vcc
	global_load_dwordx4 v[0:3], v[8:9], off
	ds_write_b128 v125, v[4:7] offset:23328
	v_add_co_u32_e32 v4, vcc, s6, v33
	v_addc_co_u32_e32 v5, vcc, 0, v34, vcc
	global_load_dwordx4 v[10:13], v[4:5], off offset:2224
	v_add_co_u32_e32 v8, vcc, s3, v8
	s_mov_b32 s6, 0xb000
	s_waitcnt vmcnt(0)
	buffer_store_dword v10, off, s[28:31], 0 offset:216 ; 4-byte Folded Spill
	s_nop 0
	buffer_store_dword v11, off, s[28:31], 0 offset:220 ; 4-byte Folded Spill
	buffer_store_dword v12, off, s[28:31], 0 offset:224 ; 4-byte Folded Spill
	buffer_store_dword v13, off, s[28:31], 0 offset:228 ; 4-byte Folded Spill
	v_mul_f64 v[4:5], v[2:3], v[12:13]
	v_fma_f64 v[4:5], v[0:1], v[10:11], v[4:5]
	v_mul_f64 v[0:1], v[0:1], v[12:13]
	v_fma_f64 v[6:7], v[2:3], v[10:11], -v[0:1]
	v_mov_b32_e32 v0, s2
	v_addc_co_u32_e32 v9, vcc, v9, v0, vcc
	global_load_dwordx4 v[0:3], v[8:9], off
	ds_write_b128 v125, v[4:7] offset:34992
	v_add_co_u32_e32 v4, vcc, s6, v33
	v_addc_co_u32_e32 v5, vcc, 0, v34, vcc
	global_load_dwordx4 v[10:13], v[4:5], off offset:1600
	v_add_co_u32_e32 v77, vcc, s16, v126
	v_addc_co_u32_e64 v79, s[6:7], 0, 0, vcc
	s_mov_b32 s16, 0x4755a5e
	s_mov_b32 s17, 0x3fe2cf23
	;; [unrolled: 1-line block ×3, first 2 shown]
	s_waitcnt vmcnt(0)
	buffer_store_dword v10, off, s[28:31], 0 offset:232 ; 4-byte Folded Spill
	s_nop 0
	buffer_store_dword v11, off, s[28:31], 0 offset:236 ; 4-byte Folded Spill
	buffer_store_dword v12, off, s[28:31], 0 offset:240 ; 4-byte Folded Spill
	;; [unrolled: 1-line block ×3, first 2 shown]
	v_mul_f64 v[4:5], v[2:3], v[12:13]
	v_fma_f64 v[4:5], v[0:1], v[10:11], v[4:5]
	v_mul_f64 v[0:1], v[0:1], v[12:13]
	v_fma_f64 v[6:7], v[2:3], v[10:11], -v[0:1]
	v_mov_b32_e32 v0, 0xffff58f0
	v_mad_u64_u32 v[8:9], s[6:7], s4, v0, v[8:9]
	s_movk_i32 s6, 0x3cc
	v_add_co_u32_e32 v76, vcc, s6, v126
	v_add_u32_e32 v9, s5, v9
	ds_write_b128 v125, v[4:7] offset:46656
	global_load_dwordx4 v[0:3], v[8:9], off
	global_load_dwordx4 v[11:14], v125, s[8:9] offset:3888
	v_add_co_u32_e32 v8, vcc, s3, v8
	s_movk_i32 s6, 0x3000
	v_mov_b32_e32 v10, 0xffff58f0
	s_mov_b32 s8, 0x372fe950
	s_mov_b32 s9, 0x3fd3c6ef
	s_waitcnt vmcnt(0)
	buffer_store_dword v11, off, s[28:31], 0 offset:72 ; 4-byte Folded Spill
	s_nop 0
	buffer_store_dword v12, off, s[28:31], 0 offset:76 ; 4-byte Folded Spill
	buffer_store_dword v13, off, s[28:31], 0 offset:80 ; 4-byte Folded Spill
	;; [unrolled: 1-line block ×3, first 2 shown]
	v_mul_f64 v[4:5], v[2:3], v[13:14]
	v_fma_f64 v[4:5], v[0:1], v[11:12], v[4:5]
	v_mul_f64 v[0:1], v[0:1], v[13:14]
	v_fma_f64 v[6:7], v[2:3], v[11:12], -v[0:1]
	v_mov_b32_e32 v0, s2
	v_addc_co_u32_e32 v9, vcc, v9, v0, vcc
	global_load_dwordx4 v[0:3], v[8:9], off
	ds_write_b128 v125, v[4:7] offset:3888
	v_add_co_u32_e32 v4, vcc, s6, v33
	v_addc_co_u32_e32 v5, vcc, 0, v34, vcc
	global_load_dwordx4 v[11:14], v[4:5], off offset:3264
	v_add_co_u32_e32 v8, vcc, s3, v8
	s_movk_i32 s6, 0x6000
	s_waitcnt vmcnt(0)
	buffer_store_dword v11, off, s[28:31], 0 offset:104 ; 4-byte Folded Spill
	s_nop 0
	buffer_store_dword v12, off, s[28:31], 0 offset:108 ; 4-byte Folded Spill
	buffer_store_dword v13, off, s[28:31], 0 offset:112 ; 4-byte Folded Spill
	;; [unrolled: 1-line block ×3, first 2 shown]
	v_mul_f64 v[4:5], v[2:3], v[13:14]
	v_fma_f64 v[4:5], v[0:1], v[11:12], v[4:5]
	v_mul_f64 v[0:1], v[0:1], v[13:14]
	v_fma_f64 v[6:7], v[2:3], v[11:12], -v[0:1]
	v_mov_b32_e32 v0, s2
	v_addc_co_u32_e32 v9, vcc, v9, v0, vcc
	global_load_dwordx4 v[0:3], v[8:9], off
	ds_write_b128 v125, v[4:7] offset:15552
	v_add_co_u32_e32 v4, vcc, s6, v33
	v_addc_co_u32_e32 v5, vcc, 0, v34, vcc
	global_load_dwordx4 v[11:14], v[4:5], off offset:2640
	v_add_co_u32_e32 v8, vcc, s3, v8
	s_mov_b32 s6, 0x9000
	s_waitcnt vmcnt(0)
	buffer_store_dword v11, off, s[28:31], 0 offset:120 ; 4-byte Folded Spill
	s_nop 0
	buffer_store_dword v12, off, s[28:31], 0 offset:124 ; 4-byte Folded Spill
	buffer_store_dword v13, off, s[28:31], 0 offset:128 ; 4-byte Folded Spill
	;; [unrolled: 1-line block ×3, first 2 shown]
	v_mul_f64 v[4:5], v[2:3], v[13:14]
	v_fma_f64 v[4:5], v[0:1], v[11:12], v[4:5]
	v_mul_f64 v[0:1], v[0:1], v[13:14]
	v_fma_f64 v[6:7], v[2:3], v[11:12], -v[0:1]
	v_mov_b32_e32 v0, s2
	v_addc_co_u32_e32 v9, vcc, v9, v0, vcc
	global_load_dwordx4 v[0:3], v[8:9], off
	ds_write_b128 v125, v[4:7] offset:27216
	v_add_co_u32_e32 v4, vcc, s6, v33
	v_addc_co_u32_e32 v5, vcc, 0, v34, vcc
	global_load_dwordx4 v[11:14], v[4:5], off offset:2016
	v_add_co_u32_e32 v8, vcc, s3, v8
	s_mov_b32 s6, 0xc000
	s_waitcnt vmcnt(0)
	buffer_store_dword v11, off, s[28:31], 0 offset:152 ; 4-byte Folded Spill
	s_nop 0
	buffer_store_dword v12, off, s[28:31], 0 offset:156 ; 4-byte Folded Spill
	buffer_store_dword v13, off, s[28:31], 0 offset:160 ; 4-byte Folded Spill
	;; [unrolled: 1-line block ×3, first 2 shown]
	v_mul_f64 v[4:5], v[2:3], v[13:14]
	v_fma_f64 v[4:5], v[0:1], v[11:12], v[4:5]
	v_mul_f64 v[0:1], v[0:1], v[13:14]
	v_fma_f64 v[6:7], v[2:3], v[11:12], -v[0:1]
	v_mov_b32_e32 v0, s2
	v_addc_co_u32_e32 v9, vcc, v9, v0, vcc
	global_load_dwordx4 v[0:3], v[8:9], off
	ds_write_b128 v125, v[4:7] offset:38880
	v_add_co_u32_e32 v4, vcc, s6, v33
	v_addc_co_u32_e32 v5, vcc, 0, v34, vcc
	global_load_dwordx4 v[11:14], v[4:5], off offset:1392
	s_movk_i32 s6, 0x1e6
	v_add_co_u32_e32 v78, vcc, s6, v126
	v_mad_u64_u32 v[8:9], s[6:7], s4, v10, v[8:9]
	s_movk_i32 s4, 0x7000
	s_mov_b32 s6, 0x134454ff
	v_add_u32_e32 v9, s5, v9
	s_mov_b32 s7, 0x3fee6f0e
	s_mov_b32 s18, s6
	s_waitcnt vmcnt(0)
	buffer_store_dword v11, off, s[28:31], 0 offset:184 ; 4-byte Folded Spill
	s_nop 0
	buffer_store_dword v12, off, s[28:31], 0 offset:188 ; 4-byte Folded Spill
	buffer_store_dword v13, off, s[28:31], 0 offset:192 ; 4-byte Folded Spill
	;; [unrolled: 1-line block ×3, first 2 shown]
	v_mul_f64 v[4:5], v[2:3], v[13:14]
	v_fma_f64 v[4:5], v[0:1], v[11:12], v[4:5]
	v_mul_f64 v[0:1], v[0:1], v[13:14]
	v_fma_f64 v[6:7], v[2:3], v[11:12], -v[0:1]
	global_load_dwordx4 v[0:3], v[8:9], off
	ds_write_b128 v125, v[4:7] offset:50544
	v_add_co_u32_e32 v4, vcc, s22, v33
	v_addc_co_u32_e32 v5, vcc, 0, v34, vcc
	global_load_dwordx4 v[10:13], v[4:5], off offset:3680
	v_add_co_u32_e32 v8, vcc, s3, v8
	s_waitcnt vmcnt(0)
	buffer_store_dword v10, off, s[28:31], 0 offset:40 ; 4-byte Folded Spill
	s_nop 0
	buffer_store_dword v11, off, s[28:31], 0 offset:44 ; 4-byte Folded Spill
	buffer_store_dword v12, off, s[28:31], 0 offset:48 ; 4-byte Folded Spill
	;; [unrolled: 1-line block ×3, first 2 shown]
	v_mul_f64 v[4:5], v[2:3], v[12:13]
	v_fma_f64 v[4:5], v[0:1], v[10:11], v[4:5]
	v_mul_f64 v[0:1], v[0:1], v[12:13]
	v_fma_f64 v[6:7], v[2:3], v[10:11], -v[0:1]
	v_mov_b32_e32 v0, s2
	v_addc_co_u32_e32 v9, vcc, v9, v0, vcc
	global_load_dwordx4 v[0:3], v[8:9], off
	ds_write_b128 v125, v[4:7] offset:7776
	v_add_co_u32_e32 v4, vcc, s20, v33
	v_addc_co_u32_e32 v5, vcc, 0, v34, vcc
	global_load_dwordx4 v[10:13], v[4:5], off offset:3056
	v_add_co_u32_e32 v8, vcc, s3, v8
	s_waitcnt vmcnt(0)
	buffer_store_dword v10, off, s[28:31], 0 offset:56 ; 4-byte Folded Spill
	s_nop 0
	buffer_store_dword v11, off, s[28:31], 0 offset:60 ; 4-byte Folded Spill
	buffer_store_dword v12, off, s[28:31], 0 offset:64 ; 4-byte Folded Spill
	;; [unrolled: 1-line block ×3, first 2 shown]
	v_mul_f64 v[4:5], v[2:3], v[12:13]
	v_fma_f64 v[4:5], v[0:1], v[10:11], v[4:5]
	v_mul_f64 v[0:1], v[0:1], v[12:13]
	v_fma_f64 v[6:7], v[2:3], v[10:11], -v[0:1]
	v_mov_b32_e32 v0, s2
	v_addc_co_u32_e32 v9, vcc, v9, v0, vcc
	global_load_dwordx4 v[0:3], v[8:9], off
	ds_write_b128 v125, v[4:7] offset:19440
	v_add_co_u32_e32 v4, vcc, s4, v33
	v_addc_co_u32_e32 v5, vcc, 0, v34, vcc
	global_load_dwordx4 v[10:13], v[4:5], off offset:2432
	v_add_co_u32_e32 v8, vcc, s3, v8
	s_mov_b32 s4, 0xa000
	s_waitcnt vmcnt(0)
	buffer_store_dword v10, off, s[28:31], 0 offset:88 ; 4-byte Folded Spill
	s_nop 0
	buffer_store_dword v11, off, s[28:31], 0 offset:92 ; 4-byte Folded Spill
	buffer_store_dword v12, off, s[28:31], 0 offset:96 ; 4-byte Folded Spill
	;; [unrolled: 1-line block ×3, first 2 shown]
	v_mul_f64 v[4:5], v[2:3], v[12:13]
	v_fma_f64 v[4:5], v[0:1], v[10:11], v[4:5]
	v_mul_f64 v[0:1], v[0:1], v[12:13]
	v_fma_f64 v[6:7], v[2:3], v[10:11], -v[0:1]
	v_mov_b32_e32 v0, s2
	v_addc_co_u32_e32 v9, vcc, v9, v0, vcc
	global_load_dwordx4 v[0:3], v[8:9], off
	ds_write_b128 v125, v[4:7] offset:31104
	v_add_co_u32_e32 v4, vcc, s4, v33
	v_addc_co_u32_e32 v5, vcc, 0, v34, vcc
	global_load_dwordx4 v[10:13], v[4:5], off offset:1808
	s_mov_b32 s4, 0xe8584caa
	s_mov_b32 s5, 0x3febb67a
	s_waitcnt vmcnt(0)
	buffer_store_dword v10, off, s[28:31], 0 ; 4-byte Folded Spill
	s_nop 0
	buffer_store_dword v11, off, s[28:31], 0 offset:4 ; 4-byte Folded Spill
	buffer_store_dword v12, off, s[28:31], 0 offset:8 ; 4-byte Folded Spill
	;; [unrolled: 1-line block ×3, first 2 shown]
	v_mul_f64 v[4:5], v[2:3], v[12:13]
	v_fma_f64 v[4:5], v[0:1], v[10:11], v[4:5]
	v_mul_f64 v[0:1], v[0:1], v[12:13]
	v_fma_f64 v[6:7], v[2:3], v[10:11], -v[0:1]
	v_add_co_u32_e32 v0, vcc, s3, v8
	v_mov_b32_e32 v1, s2
	v_addc_co_u32_e32 v1, vcc, v9, v1, vcc
	s_mov_b32 s2, 0xd000
	global_load_dwordx4 v[0:3], v[0:1], off
	ds_write_b128 v125, v[4:7] offset:42768
	v_add_co_u32_e32 v4, vcc, s2, v33
	v_addc_co_u32_e32 v5, vcc, 0, v34, vcc
	global_load_dwordx4 v[4:7], v[4:5], off offset:1184
	s_movk_i32 s2, 0xcd
	s_mov_b32 s3, 0xbfebb67a
	s_waitcnt vmcnt(0)
	v_mov_b32_e32 v9, v7
	v_mov_b32_e32 v8, v6
	;; [unrolled: 1-line block ×4, first 2 shown]
	v_mul_f64 v[4:5], v[2:3], v[8:9]
	v_fma_f64 v[4:5], v[0:1], v[6:7], v[4:5]
	v_mul_f64 v[0:1], v[0:1], v[8:9]
	buffer_store_dword v6, off, s[28:31], 0 offset:24 ; 4-byte Folded Spill
	s_nop 0
	buffer_store_dword v7, off, s[28:31], 0 offset:28 ; 4-byte Folded Spill
	buffer_store_dword v8, off, s[28:31], 0 offset:32 ; 4-byte Folded Spill
	;; [unrolled: 1-line block ×3, first 2 shown]
	v_fma_f64 v[6:7], v[2:3], v[6:7], -v[0:1]
	ds_write_b128 v125, v[4:7] offset:54432
	s_waitcnt vmcnt(0) lgkmcnt(0)
	s_barrier
	ds_read_b128 v[36:39], v125
	ds_read_b128 v[60:63], v125 offset:11664
	ds_read_b128 v[64:67], v125 offset:23328
	;; [unrolled: 1-line block ×14, first 2 shown]
	s_waitcnt lgkmcnt(11)
	v_add_f64 v[22:23], v[64:65], v[68:69]
	s_waitcnt lgkmcnt(10)
	v_add_f64 v[26:27], v[62:63], -v[82:83]
	v_add_f64 v[30:31], v[66:67], -v[70:71]
	;; [unrolled: 1-line block ×4, first 2 shown]
	v_add_f64 v[20:21], v[36:37], v[60:61]
	v_add_f64 v[74:75], v[68:69], -v[80:81]
	s_waitcnt lgkmcnt(0)
	v_fma_f64 v[22:23], v[22:23], -0.5, v[36:37]
	s_barrier
	v_add_f64 v[72:73], v[28:29], v[72:73]
	v_add_f64 v[20:21], v[20:21], v[64:65]
	v_fma_f64 v[24:25], v[26:27], s[6:7], v[22:23]
	v_fma_f64 v[22:23], v[26:27], s[18:19], v[22:23]
	v_add_f64 v[20:21], v[20:21], v[68:69]
	v_fma_f64 v[24:25], v[30:31], s[16:17], v[24:25]
	v_fma_f64 v[22:23], v[30:31], s[14:15], v[22:23]
	;; [unrolled: 3-line block ×3, first 2 shown]
	v_add_f64 v[22:23], v[60:61], v[80:81]
	v_add_f64 v[72:73], v[64:65], -v[60:61]
	v_add_f64 v[60:61], v[60:61], -v[80:81]
	;; [unrolled: 1-line block ×5, first 2 shown]
	v_fma_f64 v[22:23], v[22:23], -0.5, v[36:37]
	v_add_f64 v[72:73], v[72:73], v[74:75]
	v_add_f64 v[74:75], v[82:83], -v[70:71]
	v_fma_f64 v[36:37], v[30:31], s[18:19], v[22:23]
	v_fma_f64 v[22:23], v[30:31], s[6:7], v[22:23]
	v_add_f64 v[68:69], v[68:69], v[74:75]
	v_fma_f64 v[36:37], v[26:27], s[16:17], v[36:37]
	v_fma_f64 v[22:23], v[26:27], s[14:15], v[22:23]
	v_add_f64 v[26:27], v[66:67], v[70:71]
	v_fma_f64 v[36:37], v[72:73], s[8:9], v[36:37]
	v_fma_f64 v[72:73], v[72:73], s[8:9], v[22:23]
	v_fma_f64 v[26:27], v[26:27], -0.5, v[38:39]
	v_add_f64 v[22:23], v[38:39], v[62:63]
	v_fma_f64 v[30:31], v[60:61], s[18:19], v[26:27]
	v_fma_f64 v[26:27], v[60:61], s[6:7], v[26:27]
	v_add_f64 v[22:23], v[22:23], v[66:67]
	v_fma_f64 v[30:31], v[64:65], s[14:15], v[30:31]
	v_fma_f64 v[26:27], v[64:65], s[16:17], v[26:27]
	;; [unrolled: 3-line block ×3, first 2 shown]
	v_add_f64 v[68:69], v[62:63], v[82:83]
	v_add_f64 v[62:63], v[66:67], -v[62:63]
	v_add_f64 v[66:67], v[70:71], -v[82:83]
	;; [unrolled: 1-line block ×3, first 2 shown]
	v_add_f64 v[22:23], v[22:23], v[82:83]
	v_add_f64 v[82:83], v[48:49], -v[56:57]
	v_fma_f64 v[68:69], v[68:69], -0.5, v[38:39]
	v_add_f64 v[62:63], v[62:63], v[66:67]
	v_add_f64 v[66:67], v[42:43], -v[58:59]
	v_fma_f64 v[38:39], v[64:65], s[6:7], v[68:69]
	v_fma_f64 v[64:65], v[64:65], s[18:19], v[68:69]
	v_add_f64 v[68:69], v[40:41], -v[44:45]
	v_fma_f64 v[38:39], v[60:61], s[14:15], v[38:39]
	v_fma_f64 v[60:61], v[60:61], s[16:17], v[64:65]
	v_add_f64 v[80:81], v[68:69], v[80:81]
	v_fma_f64 v[38:39], v[62:63], s[8:9], v[38:39]
	v_fma_f64 v[74:75], v[62:63], s[8:9], v[60:61]
	v_add_f64 v[62:63], v[44:45], v[48:49]
	v_add_f64 v[60:61], v[52:53], v[40:41]
	v_fma_f64 v[62:63], v[62:63], -0.5, v[52:53]
	v_add_f64 v[60:61], v[60:61], v[44:45]
	v_fma_f64 v[64:65], v[66:67], s[6:7], v[62:63]
	v_fma_f64 v[62:63], v[66:67], s[18:19], v[62:63]
	v_add_f64 v[60:61], v[60:61], v[48:49]
	v_fma_f64 v[64:65], v[70:71], s[16:17], v[64:65]
	v_fma_f64 v[62:63], v[70:71], s[14:15], v[62:63]
	;; [unrolled: 3-line block ×3, first 2 shown]
	v_add_f64 v[62:63], v[40:41], v[56:57]
	v_add_f64 v[80:81], v[44:45], -v[40:41]
	v_add_f64 v[40:41], v[40:41], -v[56:57]
	;; [unrolled: 1-line block ×3, first 2 shown]
	v_fma_f64 v[62:63], v[62:63], -0.5, v[52:53]
	v_add_f64 v[80:81], v[80:81], v[82:83]
	v_fma_f64 v[52:53], v[70:71], s[18:19], v[62:63]
	v_fma_f64 v[62:63], v[70:71], s[6:7], v[62:63]
	v_add_f64 v[70:71], v[58:59], -v[50:51]
	v_fma_f64 v[52:53], v[66:67], s[16:17], v[52:53]
	v_fma_f64 v[62:63], v[66:67], s[14:15], v[62:63]
	v_add_f64 v[66:67], v[46:47], v[50:51]
	v_fma_f64 v[52:53], v[80:81], s[8:9], v[52:53]
	v_fma_f64 v[80:81], v[80:81], s[8:9], v[62:63]
	v_fma_f64 v[66:67], v[66:67], -0.5, v[54:55]
	v_add_f64 v[62:63], v[54:55], v[42:43]
	v_fma_f64 v[56:57], v[40:41], s[18:19], v[66:67]
	v_add_f64 v[62:63], v[62:63], v[46:47]
	v_fma_f64 v[48:49], v[44:45], s[14:15], v[56:57]
	v_add_f64 v[56:57], v[42:43], -v[46:47]
	v_add_f64 v[62:63], v[62:63], v[50:51]
	v_add_f64 v[56:57], v[56:57], v[70:71]
	;; [unrolled: 1-line block ×3, first 2 shown]
	v_fma_f64 v[70:71], v[56:57], s[8:9], v[48:49]
	v_fma_f64 v[48:49], v[40:41], s[6:7], v[66:67]
	;; [unrolled: 1-line block ×4, first 2 shown]
	v_add_f64 v[48:49], v[42:43], v[58:59]
	v_add_f64 v[42:43], v[46:47], -v[42:43]
	v_add_f64 v[46:47], v[50:51], -v[58:59]
	;; [unrolled: 1-line block ×5, first 2 shown]
	v_fma_f64 v[48:49], v[48:49], -0.5, v[54:55]
	v_add_f64 v[42:43], v[42:43], v[46:47]
	v_add_f64 v[46:47], v[2:3], -v[14:15]
	v_fma_f64 v[54:55], v[44:45], s[6:7], v[48:49]
	v_fma_f64 v[44:45], v[44:45], s[18:19], v[48:49]
	v_add_f64 v[48:49], v[0:1], -v[4:5]
	v_fma_f64 v[54:55], v[40:41], s[14:15], v[54:55]
	v_fma_f64 v[40:41], v[40:41], s[16:17], v[44:45]
	v_add_f64 v[48:49], v[48:49], v[56:57]
	v_add_f64 v[56:57], v[4:5], -v[0:1]
	v_fma_f64 v[54:55], v[42:43], s[8:9], v[54:55]
	v_fma_f64 v[82:83], v[42:43], s[8:9], v[40:41]
	v_add_f64 v[42:43], v[4:5], v[8:9]
	v_add_f64 v[40:41], v[16:17], v[0:1]
	;; [unrolled: 1-line block ×3, first 2 shown]
	v_fma_f64 v[42:43], v[42:43], -0.5, v[16:17]
	v_add_f64 v[40:41], v[40:41], v[4:5]
	v_add_f64 v[4:5], v[4:5], -v[8:9]
	v_fma_f64 v[44:45], v[46:47], s[6:7], v[42:43]
	v_fma_f64 v[42:43], v[46:47], s[18:19], v[42:43]
	v_add_f64 v[40:41], v[40:41], v[8:9]
	v_fma_f64 v[44:45], v[50:51], s[16:17], v[44:45]
	v_fma_f64 v[42:43], v[50:51], s[14:15], v[42:43]
	v_add_f64 v[40:41], v[40:41], v[12:13]
	;; [unrolled: 3-line block ×3, first 2 shown]
	v_add_f64 v[0:1], v[0:1], -v[12:13]
	v_fma_f64 v[42:43], v[42:43], -0.5, v[16:17]
	v_fma_f64 v[16:17], v[50:51], s[18:19], v[42:43]
	v_fma_f64 v[42:43], v[50:51], s[6:7], v[42:43]
	;; [unrolled: 1-line block ×4, first 2 shown]
	v_add_f64 v[46:47], v[6:7], v[10:11]
	v_fma_f64 v[16:17], v[56:57], s[8:9], v[16:17]
	v_fma_f64 v[56:57], v[56:57], s[8:9], v[42:43]
	v_fma_f64 v[50:51], v[46:47], -0.5, v[18:19]
	v_add_f64 v[46:47], v[14:15], -v[10:11]
	v_add_f64 v[42:43], v[18:19], v[2:3]
	v_fma_f64 v[12:13], v[0:1], s[18:19], v[50:51]
	v_add_f64 v[42:43], v[42:43], v[6:7]
	v_fma_f64 v[8:9], v[4:5], s[14:15], v[12:13]
	v_add_f64 v[12:13], v[2:3], -v[6:7]
	v_add_f64 v[42:43], v[42:43], v[10:11]
	v_add_f64 v[12:13], v[12:13], v[46:47]
	;; [unrolled: 1-line block ×3, first 2 shown]
	v_fma_f64 v[46:47], v[12:13], s[8:9], v[8:9]
	v_fma_f64 v[8:9], v[0:1], s[6:7], v[50:51]
	;; [unrolled: 1-line block ×4, first 2 shown]
	v_add_f64 v[8:9], v[2:3], v[14:15]
	v_add_f64 v[2:3], v[6:7], -v[2:3]
	v_add_f64 v[6:7], v[10:11], -v[14:15]
	v_fma_f64 v[8:9], v[8:9], -0.5, v[18:19]
	v_add_f64 v[2:3], v[2:3], v[6:7]
	v_fma_f64 v[12:13], v[4:5], s[6:7], v[8:9]
	v_fma_f64 v[4:5], v[4:5], s[18:19], v[8:9]
	;; [unrolled: 1-line block ×6, first 2 shown]
	v_mul_lo_u16_e32 v0, 5, v126
	v_lshlrev_b32_e32 v0, 4, v0
	buffer_store_dword v0, off, s[28:31], 0 offset:380 ; 4-byte Folded Spill
	ds_write_b128 v0, v[20:23]
	ds_write_b128 v0, v[28:31] offset:16
	ds_write_b128 v0, v[36:39] offset:32
	;; [unrolled: 1-line block ×4, first 2 shown]
	v_mul_lo_u16_sdwa v20, v126, s2 dst_sel:DWORD dst_unused:UNUSED_PAD src0_sel:BYTE_0 src1_sel:DWORD
	v_lshrrev_b16_e32 v20, 10, v20
	v_mul_lo_u16_e32 v21, 5, v20
	v_mul_u32_u24_e32 v0, 5, v77
	v_sub_u16_e32 v21, v126, v21
	v_lshlrev_b32_e32 v127, 4, v0
	v_mul_u32_u24_e32 v0, 5, v78
	v_and_b32_e32 v21, 0xff, v21
	v_lshlrev_b32_e32 v0, 4, v0
	v_lshlrev_b32_e32 v30, 5, v21
	ds_write_b128 v127, v[60:63]
	ds_write_b128 v127, v[68:71] offset:16
	ds_write_b128 v127, v[52:55] offset:32
	;; [unrolled: 1-line block ×4, first 2 shown]
	buffer_store_dword v0, off, s[28:31], 0 offset:280 ; 4-byte Folded Spill
	ds_write_b128 v0, v[40:43]
	ds_write_b128 v0, v[44:47] offset:16
	ds_write_b128 v0, v[16:19] offset:32
	ds_write_b128 v0, v[56:59] offset:48
	ds_write_b128 v0, v[48:51] offset:64
	s_waitcnt vmcnt(0) lgkmcnt(0)
	s_barrier
	ds_read_b128 v[16:19], v125
	ds_read_b128 v[22:25], v125 offset:19440
	ds_read_b128 v[26:29], v125 offset:38880
	;; [unrolled: 1-line block ×14, first 2 shown]
	global_load_dwordx4 v[70:73], v30, s[10:11] offset:16
	global_load_dwordx4 v[80:83], v30, s[10:11]
	s_waitcnt vmcnt(0)
	buffer_store_dword v80, off, s[28:31], 0 offset:264 ; 4-byte Folded Spill
	s_nop 0
	buffer_store_dword v81, off, s[28:31], 0 offset:268 ; 4-byte Folded Spill
	buffer_store_dword v82, off, s[28:31], 0 offset:272 ; 4-byte Folded Spill
	;; [unrolled: 1-line block ×3, first 2 shown]
	v_mov_b32_e32 v75, v73
	v_mov_b32_e32 v74, v72
	;; [unrolled: 1-line block ×4, first 2 shown]
	buffer_store_dword v72, off, s[28:31], 0 offset:248 ; 4-byte Folded Spill
	s_nop 0
	buffer_store_dword v73, off, s[28:31], 0 offset:252 ; 4-byte Folded Spill
	buffer_store_dword v74, off, s[28:31], 0 offset:256 ; 4-byte Folded Spill
	buffer_store_dword v75, off, s[28:31], 0 offset:260 ; 4-byte Folded Spill
	s_mov_b32 s2, 0xcccd
	v_mul_u32_u24_e32 v20, 15, v20
	v_add_lshl_u32 v20, v20, v21, 4
	s_waitcnt lgkmcnt(13)
	v_mul_f64 v[30:31], v[24:25], v[82:83]
	v_fma_f64 v[30:31], v[22:23], v[80:81], -v[30:31]
	v_mul_f64 v[22:23], v[22:23], v[82:83]
	v_fma_f64 v[68:69], v[24:25], v[80:81], v[22:23]
	s_waitcnt lgkmcnt(12)
	v_mul_f64 v[22:23], v[28:29], v[74:75]
	v_fma_f64 v[70:71], v[26:27], v[72:73], -v[22:23]
	v_mul_f64 v[22:23], v[26:27], v[74:75]
	v_fma_f64 v[72:73], v[28:29], v[72:73], v[22:23]
	v_mul_u32_u24_sdwa v22, v77, s2 dst_sel:DWORD dst_unused:UNUSED_PAD src0_sel:WORD_0 src1_sel:DWORD
	v_lshrrev_b32_e32 v22, 18, v22
	v_mul_lo_u16_e32 v23, 5, v22
	v_sub_u16_e32 v23, v77, v23
	v_lshlrev_b16_e32 v24, 1, v23
	v_lshlrev_b32_e32 v24, 4, v24
	global_load_dwordx4 v[26:29], v24, s[10:11] offset:16
	s_waitcnt vmcnt(0)
	buffer_store_dword v26, off, s[28:31], 0 offset:284 ; 4-byte Folded Spill
	s_nop 0
	buffer_store_dword v27, off, s[28:31], 0 offset:288 ; 4-byte Folded Spill
	buffer_store_dword v28, off, s[28:31], 0 offset:292 ; 4-byte Folded Spill
	;; [unrolled: 1-line block ×3, first 2 shown]
	global_load_dwordx4 v[80:83], v24, s[10:11]
	s_waitcnt vmcnt(0)
	buffer_store_dword v80, off, s[28:31], 0 offset:300 ; 4-byte Folded Spill
	s_nop 0
	buffer_store_dword v81, off, s[28:31], 0 offset:304 ; 4-byte Folded Spill
	buffer_store_dword v82, off, s[28:31], 0 offset:308 ; 4-byte Folded Spill
	;; [unrolled: 1-line block ×3, first 2 shown]
	s_waitcnt lgkmcnt(10)
	v_mul_f64 v[24:25], v[38:39], v[82:83]
	v_fma_f64 v[74:75], v[36:37], v[80:81], -v[24:25]
	v_mul_f64 v[24:25], v[36:37], v[82:83]
	v_fma_f64 v[80:81], v[38:39], v[80:81], v[24:25]
	s_waitcnt lgkmcnt(9)
	v_mul_f64 v[24:25], v[42:43], v[28:29]
	v_fma_f64 v[82:83], v[40:41], v[26:27], -v[24:25]
	v_mul_f64 v[24:25], v[40:41], v[28:29]
	v_fma_f64 v[84:85], v[42:43], v[26:27], v[24:25]
	v_mul_u32_u24_sdwa v24, v78, s2 dst_sel:DWORD dst_unused:UNUSED_PAD src0_sel:WORD_0 src1_sel:DWORD
	v_lshrrev_b32_e32 v24, 18, v24
	v_mul_lo_u16_e32 v25, 5, v24
	v_sub_u16_e32 v25, v78, v25
	v_lshlrev_b16_e32 v26, 1, v25
	v_lshlrev_b32_e32 v26, 4, v26
	global_load_dwordx4 v[36:39], v26, s[10:11] offset:16
	s_waitcnt vmcnt(0)
	buffer_store_dword v36, off, s[28:31], 0 offset:316 ; 4-byte Folded Spill
	s_nop 0
	buffer_store_dword v37, off, s[28:31], 0 offset:320 ; 4-byte Folded Spill
	buffer_store_dword v38, off, s[28:31], 0 offset:324 ; 4-byte Folded Spill
	;; [unrolled: 1-line block ×3, first 2 shown]
	global_load_dwordx4 v[40:43], v26, s[10:11]
	s_waitcnt vmcnt(0)
	buffer_store_dword v40, off, s[28:31], 0 offset:332 ; 4-byte Folded Spill
	s_nop 0
	buffer_store_dword v41, off, s[28:31], 0 offset:336 ; 4-byte Folded Spill
	buffer_store_dword v42, off, s[28:31], 0 offset:340 ; 4-byte Folded Spill
	;; [unrolled: 1-line block ×3, first 2 shown]
	s_waitcnt lgkmcnt(7)
	v_mul_f64 v[26:27], v[46:47], v[42:43]
	v_fma_f64 v[86:87], v[44:45], v[40:41], -v[26:27]
	v_mul_f64 v[26:27], v[44:45], v[42:43]
	v_fma_f64 v[88:89], v[46:47], v[40:41], v[26:27]
	s_waitcnt lgkmcnt(6)
	v_mul_f64 v[26:27], v[50:51], v[38:39]
	v_add_f64 v[46:47], v[80:81], -v[84:85]
	v_fma_f64 v[90:91], v[48:49], v[36:37], -v[26:27]
	v_mul_f64 v[26:27], v[48:49], v[38:39]
	v_fma_f64 v[92:93], v[50:51], v[36:37], v[26:27]
	v_mul_u32_u24_sdwa v26, v35, s2 dst_sel:DWORD dst_unused:UNUSED_PAD src0_sel:WORD_0 src1_sel:DWORD
	v_lshrrev_b32_e32 v26, 18, v26
	v_mul_lo_u16_e32 v27, 5, v26
	v_sub_u16_e32 v27, v35, v27
	v_lshlrev_b16_e32 v28, 1, v27
	v_lshlrev_b32_e32 v28, 4, v28
	global_load_dwordx4 v[36:39], v28, s[10:11] offset:16
	s_waitcnt vmcnt(0)
	buffer_store_dword v36, off, s[28:31], 0 offset:348 ; 4-byte Folded Spill
	s_nop 0
	buffer_store_dword v37, off, s[28:31], 0 offset:352 ; 4-byte Folded Spill
	buffer_store_dword v38, off, s[28:31], 0 offset:356 ; 4-byte Folded Spill
	;; [unrolled: 1-line block ×3, first 2 shown]
	global_load_dwordx4 v[40:43], v28, s[10:11]
	s_waitcnt vmcnt(0)
	buffer_store_dword v40, off, s[28:31], 0 offset:364 ; 4-byte Folded Spill
	s_nop 0
	buffer_store_dword v41, off, s[28:31], 0 offset:368 ; 4-byte Folded Spill
	buffer_store_dword v42, off, s[28:31], 0 offset:372 ; 4-byte Folded Spill
	;; [unrolled: 1-line block ×3, first 2 shown]
	v_add_f64 v[50:51], v[74:75], -v[82:83]
	s_waitcnt lgkmcnt(4)
	v_mul_f64 v[28:29], v[54:55], v[42:43]
	v_fma_f64 v[94:95], v[52:53], v[40:41], -v[28:29]
	v_mul_f64 v[28:29], v[52:53], v[42:43]
	v_fma_f64 v[96:97], v[54:55], v[40:41], v[28:29]
	s_waitcnt lgkmcnt(3)
	v_mul_f64 v[28:29], v[58:59], v[38:39]
	v_add_f64 v[54:55], v[88:89], -v[92:93]
	v_fma_f64 v[98:99], v[56:57], v[36:37], -v[28:29]
	v_mul_f64 v[28:29], v[56:57], v[38:39]
	v_fma_f64 v[100:101], v[58:59], v[36:37], v[28:29]
	v_mul_u32_u24_sdwa v28, v76, s2 dst_sel:DWORD dst_unused:UNUSED_PAD src0_sel:WORD_0 src1_sel:DWORD
	v_lshrrev_b32_e32 v28, 18, v28
	v_mul_lo_u16_e32 v29, 5, v28
	v_sub_u16_e32 v29, v76, v29
	v_lshlrev_b16_e32 v32, 1, v29
	v_lshlrev_b32_e32 v32, 4, v32
	global_load_dwordx4 v[38:41], v32, s[10:11] offset:16
	global_load_dwordx4 v[42:45], v32, s[10:11]
	s_waitcnt vmcnt(0)
	buffer_store_dword v42, off, s[28:31], 0 offset:400 ; 4-byte Folded Spill
	s_nop 0
	buffer_store_dword v43, off, s[28:31], 0 offset:404 ; 4-byte Folded Spill
	buffer_store_dword v44, off, s[28:31], 0 offset:408 ; 4-byte Folded Spill
	;; [unrolled: 1-line block ×4, first 2 shown]
	s_nop 0
	buffer_store_dword v39, off, s[28:31], 0 offset:388 ; 4-byte Folded Spill
	buffer_store_dword v40, off, s[28:31], 0 offset:392 ; 4-byte Folded Spill
	;; [unrolled: 1-line block ×3, first 2 shown]
	s_mov_b32 s2, s4
	v_add_f64 v[58:59], v[86:87], -v[90:91]
	s_waitcnt vmcnt(0) lgkmcnt(0)
	s_barrier
	buffer_store_dword v20, off, s[28:31], 0 offset:528 ; 4-byte Folded Spill
	v_mul_f64 v[36:37], v[62:63], v[44:45]
	v_fma_f64 v[102:103], v[60:61], v[42:43], -v[36:37]
	v_mul_f64 v[36:37], v[60:61], v[44:45]
	v_fma_f64 v[104:105], v[62:63], v[42:43], v[36:37]
	v_mul_f64 v[36:37], v[66:67], v[40:41]
	v_add_f64 v[42:43], v[68:69], v[72:73]
	v_add_f64 v[62:63], v[96:97], -v[100:101]
	v_fma_f64 v[106:107], v[64:65], v[38:39], -v[36:37]
	v_mul_f64 v[36:37], v[64:65], v[40:41]
	v_add_f64 v[40:41], v[68:69], -v[72:73]
	v_fma_f64 v[42:43], v[42:43], -0.5, v[18:19]
	v_fma_f64 v[108:109], v[66:67], v[38:39], v[36:37]
	v_add_f64 v[38:39], v[30:31], v[70:71]
	v_add_f64 v[36:37], v[16:17], v[30:31]
	v_add_f64 v[30:31], v[30:31], -v[70:71]
	v_add_f64 v[66:67], v[94:95], -v[98:99]
	v_fma_f64 v[38:39], v[38:39], -0.5, v[16:17]
	v_add_f64 v[36:37], v[36:37], v[70:71]
	v_add_f64 v[70:71], v[104:105], -v[108:109]
	v_fma_f64 v[16:17], v[40:41], s[4:5], v[38:39]
	v_fma_f64 v[40:41], v[40:41], s[2:3], v[38:39]
	v_add_f64 v[38:39], v[18:19], v[68:69]
	v_fma_f64 v[18:19], v[30:31], s[2:3], v[42:43]
	v_fma_f64 v[42:43], v[30:31], s[4:5], v[42:43]
	v_add_f64 v[30:31], v[12:13], v[74:75]
	v_add_f64 v[38:39], v[38:39], v[72:73]
	ds_write_b128 v20, v[36:39]
	ds_write_b128 v20, v[16:19] offset:80
	ds_write_b128 v20, v[40:43] offset:160
	v_add_f64 v[44:45], v[30:31], v[82:83]
	v_add_f64 v[30:31], v[74:75], v[82:83]
	v_add_f64 v[74:75], v[102:103], -v[106:107]
	v_mad_legacy_u16 v16, v22, 15, v23
	v_lshlrev_b32_e32 v16, 4, v16
	buffer_store_dword v16, off, s[28:31], 0 offset:492 ; 4-byte Folded Spill
	v_mul_lo_u16_sdwa v20, v126, s23 dst_sel:DWORD dst_unused:UNUSED_PAD src0_sel:BYTE_0 src1_sel:DWORD
	v_lshrrev_b16_e32 v21, 11, v20
	v_mul_lo_u16_e32 v20, 15, v21
	v_fma_f64 v[30:31], v[30:31], -0.5, v[12:13]
	v_sub_u16_e32 v20, v126, v20
	v_and_b32_e32 v22, 0xff, v20
	v_lshlrev_b32_e32 v20, 5, v22
	s_mov_b32 s23, 0x8889
	v_mul_u32_u24_e32 v21, 45, v21
	v_add_lshl_u32 v21, v21, v22, 4
	v_fma_f64 v[12:13], v[46:47], s[4:5], v[30:31]
	v_fma_f64 v[48:49], v[46:47], s[2:3], v[30:31]
	v_add_f64 v[30:31], v[14:15], v[80:81]
	v_add_f64 v[46:47], v[30:31], v[84:85]
	v_add_f64 v[30:31], v[80:81], v[84:85]
	v_fma_f64 v[30:31], v[30:31], -0.5, v[14:15]
	v_fma_f64 v[14:15], v[50:51], s[2:3], v[30:31]
	v_fma_f64 v[50:51], v[50:51], s[4:5], v[30:31]
	v_add_f64 v[30:31], v[8:9], v[86:87]
	ds_write_b128 v16, v[44:47]
	ds_write_b128 v16, v[12:15] offset:80
	ds_write_b128 v16, v[48:51] offset:160
	v_mad_legacy_u16 v12, v24, 15, v25
	v_lshlrev_b32_e32 v12, 4, v12
	v_add_f64 v[52:53], v[30:31], v[90:91]
	v_add_f64 v[30:31], v[86:87], v[90:91]
	buffer_store_dword v12, off, s[28:31], 0 offset:488 ; 4-byte Folded Spill
	v_fma_f64 v[30:31], v[30:31], -0.5, v[8:9]
	v_fma_f64 v[8:9], v[54:55], s[4:5], v[30:31]
	v_fma_f64 v[56:57], v[54:55], s[2:3], v[30:31]
	v_add_f64 v[30:31], v[10:11], v[88:89]
	v_add_f64 v[54:55], v[30:31], v[92:93]
	v_add_f64 v[30:31], v[88:89], v[92:93]
	v_fma_f64 v[30:31], v[30:31], -0.5, v[10:11]
	v_fma_f64 v[10:11], v[58:59], s[2:3], v[30:31]
	v_fma_f64 v[58:59], v[58:59], s[4:5], v[30:31]
	v_add_f64 v[30:31], v[4:5], v[94:95]
	ds_write_b128 v12, v[52:55]
	ds_write_b128 v12, v[8:11] offset:80
	ds_write_b128 v12, v[56:59] offset:160
	v_mad_legacy_u16 v8, v26, 15, v27
	v_lshlrev_b32_e32 v8, 4, v8
	v_add_f64 v[60:61], v[30:31], v[98:99]
	v_add_f64 v[30:31], v[94:95], v[98:99]
	buffer_store_dword v8, off, s[28:31], 0 offset:452 ; 4-byte Folded Spill
	v_fma_f64 v[30:31], v[30:31], -0.5, v[4:5]
	v_fma_f64 v[4:5], v[62:63], s[4:5], v[30:31]
	v_fma_f64 v[64:65], v[62:63], s[2:3], v[30:31]
	v_add_f64 v[30:31], v[6:7], v[96:97]
	v_add_f64 v[62:63], v[30:31], v[100:101]
	v_add_f64 v[30:31], v[96:97], v[100:101]
	v_fma_f64 v[30:31], v[30:31], -0.5, v[6:7]
	v_fma_f64 v[6:7], v[66:67], s[2:3], v[30:31]
	v_fma_f64 v[66:67], v[66:67], s[4:5], v[30:31]
	v_add_f64 v[30:31], v[0:1], v[102:103]
	ds_write_b128 v8, v[60:63]
	ds_write_b128 v8, v[4:7] offset:80
	ds_write_b128 v8, v[64:67] offset:160
	v_mad_legacy_u16 v4, v28, 15, v29
	v_lshlrev_b32_e32 v4, 4, v4
	v_add_f64 v[68:69], v[30:31], v[106:107]
	v_add_f64 v[30:31], v[102:103], v[106:107]
	buffer_store_dword v4, off, s[28:31], 0 offset:416 ; 4-byte Folded Spill
	v_fma_f64 v[30:31], v[30:31], -0.5, v[0:1]
	v_fma_f64 v[0:1], v[70:71], s[4:5], v[30:31]
	v_fma_f64 v[72:73], v[70:71], s[2:3], v[30:31]
	v_add_f64 v[30:31], v[2:3], v[104:105]
	v_add_f64 v[70:71], v[30:31], v[108:109]
	;; [unrolled: 1-line block ×3, first 2 shown]
	v_fma_f64 v[30:31], v[30:31], -0.5, v[2:3]
	v_fma_f64 v[2:3], v[74:75], s[2:3], v[30:31]
	v_fma_f64 v[74:75], v[74:75], s[4:5], v[30:31]
	ds_write_b128 v4, v[68:71]
	ds_write_b128 v4, v[0:3] offset:80
	ds_write_b128 v4, v[72:75] offset:160
	s_waitcnt vmcnt(0) lgkmcnt(0)
	s_barrier
	ds_read_b128 v[16:19], v125
	ds_read_b128 v[23:26], v125 offset:19440
	ds_read_b128 v[27:30], v125 offset:38880
	;; [unrolled: 1-line block ×14, first 2 shown]
	global_load_dwordx4 v[70:73], v20, s[10:11] offset:176
	global_load_dwordx4 v[80:83], v20, s[10:11] offset:160
	s_waitcnt vmcnt(0)
	buffer_store_dword v80, off, s[28:31], 0 offset:436 ; 4-byte Folded Spill
	s_nop 0
	buffer_store_dword v81, off, s[28:31], 0 offset:440 ; 4-byte Folded Spill
	buffer_store_dword v82, off, s[28:31], 0 offset:444 ; 4-byte Folded Spill
	;; [unrolled: 1-line block ×3, first 2 shown]
	v_mov_b32_e32 v75, v73
	v_mov_b32_e32 v74, v72
	;; [unrolled: 1-line block ×4, first 2 shown]
	buffer_store_dword v72, off, s[28:31], 0 offset:420 ; 4-byte Folded Spill
	s_nop 0
	buffer_store_dword v73, off, s[28:31], 0 offset:424 ; 4-byte Folded Spill
	buffer_store_dword v74, off, s[28:31], 0 offset:428 ; 4-byte Folded Spill
	;; [unrolled: 1-line block ×3, first 2 shown]
	v_mul_u32_u24_sdwa v20, v77, s23 dst_sel:DWORD dst_unused:UNUSED_PAD src0_sel:WORD_0 src1_sel:DWORD
	s_waitcnt lgkmcnt(13)
	v_mul_f64 v[31:32], v[25:26], v[82:83]
	v_fma_f64 v[31:32], v[23:24], v[80:81], -v[31:32]
	v_mul_f64 v[23:24], v[23:24], v[82:83]
	v_fma_f64 v[68:69], v[25:26], v[80:81], v[23:24]
	s_waitcnt lgkmcnt(12)
	v_mul_f64 v[23:24], v[29:30], v[74:75]
	v_fma_f64 v[70:71], v[27:28], v[72:73], -v[23:24]
	v_mul_f64 v[23:24], v[27:28], v[74:75]
	v_fma_f64 v[72:73], v[29:30], v[72:73], v[23:24]
	v_lshrrev_b32_e32 v23, 19, v20
	v_mul_lo_u16_e32 v20, 15, v23
	v_sub_u16_e32 v24, v77, v20
	v_lshlrev_b16_e32 v20, 5, v24
	v_add_co_u32_e32 v25, vcc, s10, v20
	v_mov_b32_e32 v20, s11
	v_addc_co_u32_e32 v26, vcc, 0, v20, vcc
	global_load_dwordx4 v[27:30], v[25:26], off offset:176
	s_waitcnt vmcnt(0)
	buffer_store_dword v27, off, s[28:31], 0 offset:456 ; 4-byte Folded Spill
	s_nop 0
	buffer_store_dword v28, off, s[28:31], 0 offset:460 ; 4-byte Folded Spill
	buffer_store_dword v29, off, s[28:31], 0 offset:464 ; 4-byte Folded Spill
	buffer_store_dword v30, off, s[28:31], 0 offset:468 ; 4-byte Folded Spill
	global_load_dwordx4 v[80:83], v[25:26], off offset:160
	s_waitcnt vmcnt(0)
	buffer_store_dword v80, off, s[28:31], 0 offset:472 ; 4-byte Folded Spill
	s_nop 0
	buffer_store_dword v81, off, s[28:31], 0 offset:476 ; 4-byte Folded Spill
	buffer_store_dword v82, off, s[28:31], 0 offset:480 ; 4-byte Folded Spill
	;; [unrolled: 1-line block ×3, first 2 shown]
	s_waitcnt lgkmcnt(10)
	v_mul_f64 v[25:26], v[38:39], v[82:83]
	v_fma_f64 v[74:75], v[36:37], v[80:81], -v[25:26]
	v_mul_f64 v[25:26], v[36:37], v[82:83]
	v_fma_f64 v[80:81], v[38:39], v[80:81], v[25:26]
	s_waitcnt lgkmcnt(9)
	v_mul_f64 v[25:26], v[42:43], v[29:30]
	v_fma_f64 v[82:83], v[40:41], v[27:28], -v[25:26]
	v_mul_f64 v[25:26], v[40:41], v[29:30]
	v_fma_f64 v[84:85], v[42:43], v[27:28], v[25:26]
	v_mul_u32_u24_sdwa v25, v78, s23 dst_sel:DWORD dst_unused:UNUSED_PAD src0_sel:WORD_0 src1_sel:DWORD
	v_lshrrev_b32_e32 v25, 19, v25
	v_mul_lo_u16_e32 v26, 15, v25
	v_sub_u16_e32 v26, v78, v26
	v_lshlrev_b16_e32 v27, 5, v26
	v_add_co_u32_e32 v27, vcc, s10, v27
	v_addc_co_u32_e32 v28, vcc, 0, v20, vcc
	global_load_dwordx4 v[36:39], v[27:28], off offset:176
	s_waitcnt vmcnt(0)
	buffer_store_dword v36, off, s[28:31], 0 offset:496 ; 4-byte Folded Spill
	s_nop 0
	buffer_store_dword v37, off, s[28:31], 0 offset:500 ; 4-byte Folded Spill
	buffer_store_dword v38, off, s[28:31], 0 offset:504 ; 4-byte Folded Spill
	;; [unrolled: 1-line block ×3, first 2 shown]
	global_load_dwordx4 v[40:43], v[27:28], off offset:160
	s_waitcnt vmcnt(0)
	buffer_store_dword v40, off, s[28:31], 0 offset:512 ; 4-byte Folded Spill
	s_nop 0
	buffer_store_dword v41, off, s[28:31], 0 offset:516 ; 4-byte Folded Spill
	buffer_store_dword v42, off, s[28:31], 0 offset:520 ; 4-byte Folded Spill
	buffer_store_dword v43, off, s[28:31], 0 offset:524 ; 4-byte Folded Spill
	s_waitcnt lgkmcnt(7)
	v_mul_f64 v[27:28], v[46:47], v[42:43]
	v_fma_f64 v[86:87], v[44:45], v[40:41], -v[27:28]
	v_mul_f64 v[27:28], v[44:45], v[42:43]
	v_add_f64 v[42:43], v[68:69], v[72:73]
	v_fma_f64 v[88:89], v[46:47], v[40:41], v[27:28]
	s_waitcnt lgkmcnt(6)
	v_mul_f64 v[27:28], v[50:51], v[38:39]
	v_add_f64 v[40:41], v[68:69], -v[72:73]
	v_fma_f64 v[42:43], v[42:43], -0.5, v[18:19]
	v_add_f64 v[46:47], v[80:81], -v[84:85]
	v_fma_f64 v[90:91], v[48:49], v[36:37], -v[27:28]
	v_mul_f64 v[27:28], v[48:49], v[38:39]
	v_fma_f64 v[92:93], v[50:51], v[36:37], v[27:28]
	v_mul_u32_u24_sdwa v27, v35, s23 dst_sel:DWORD dst_unused:UNUSED_PAD src0_sel:WORD_0 src1_sel:DWORD
	v_lshrrev_b32_e32 v27, 19, v27
	v_mul_lo_u16_e32 v28, 15, v27
	v_sub_u16_e32 v28, v35, v28
	v_lshlrev_b16_e32 v29, 5, v28
	v_add_co_u32_e32 v29, vcc, s10, v29
	v_addc_co_u32_e32 v30, vcc, 0, v20, vcc
	global_load_dwordx4 v[36:39], v[29:30], off offset:176
	s_waitcnt vmcnt(0)
	buffer_store_dword v36, off, s[28:31], 0 offset:532 ; 4-byte Folded Spill
	s_nop 0
	buffer_store_dword v37, off, s[28:31], 0 offset:536 ; 4-byte Folded Spill
	buffer_store_dword v38, off, s[28:31], 0 offset:540 ; 4-byte Folded Spill
	buffer_store_dword v39, off, s[28:31], 0 offset:544 ; 4-byte Folded Spill
	global_load_dwordx4 v[128:131], v[29:30], off offset:160
	v_add_f64 v[50:51], v[74:75], -v[82:83]
	s_waitcnt vmcnt(0) lgkmcnt(4)
	v_mul_f64 v[29:30], v[54:55], v[130:131]
	v_fma_f64 v[94:95], v[52:53], v[128:129], -v[29:30]
	v_mul_f64 v[29:30], v[52:53], v[130:131]
	v_fma_f64 v[96:97], v[54:55], v[128:129], v[29:30]
	s_waitcnt lgkmcnt(3)
	v_mul_f64 v[29:30], v[58:59], v[38:39]
	v_add_f64 v[54:55], v[88:89], -v[92:93]
	v_fma_f64 v[98:99], v[56:57], v[36:37], -v[29:30]
	v_mul_f64 v[29:30], v[56:57], v[38:39]
	v_add_f64 v[38:39], v[31:32], v[70:71]
	v_fma_f64 v[100:101], v[58:59], v[36:37], v[29:30]
	v_mul_u32_u24_sdwa v29, v76, s23 dst_sel:DWORD dst_unused:UNUSED_PAD src0_sel:WORD_0 src1_sel:DWORD
	v_lshrrev_b32_e32 v29, 19, v29
	v_mul_lo_u16_e32 v30, 15, v29
	v_sub_u16_e32 v30, v76, v30
	v_lshlrev_b16_e32 v36, 5, v30
	v_add_co_u32_e32 v36, vcc, s10, v36
	v_addc_co_u32_e32 v37, vcc, 0, v20, vcc
	global_load_dwordx4 v[132:135], v[36:37], off offset:176
	global_load_dwordx4 v[136:139], v[36:37], off offset:160
	v_fma_f64 v[38:39], v[38:39], -0.5, v[16:17]
	v_add_f64 v[58:59], v[86:87], -v[90:91]
	s_movk_i32 s23, 0x6d
	s_waitcnt vmcnt(0) lgkmcnt(0)
	s_barrier
	buffer_store_dword v21, off, s[28:31], 0 offset:564 ; 4-byte Folded Spill
	v_mul_f64 v[36:37], v[62:63], v[138:139]
	v_fma_f64 v[102:103], v[60:61], v[136:137], -v[36:37]
	v_mul_f64 v[36:37], v[60:61], v[138:139]
	v_fma_f64 v[104:105], v[62:63], v[136:137], v[36:37]
	v_mul_f64 v[36:37], v[66:67], v[134:135]
	v_add_f64 v[62:63], v[96:97], -v[100:101]
	v_fma_f64 v[106:107], v[64:65], v[132:133], -v[36:37]
	v_mul_f64 v[36:37], v[64:65], v[134:135]
	v_fma_f64 v[108:109], v[66:67], v[132:133], v[36:37]
	v_add_f64 v[36:37], v[16:17], v[31:32]
	v_add_f64 v[31:32], v[31:32], -v[70:71]
	v_fma_f64 v[16:17], v[40:41], s[4:5], v[38:39]
	v_fma_f64 v[40:41], v[40:41], s[2:3], v[38:39]
	v_add_f64 v[38:39], v[18:19], v[68:69]
	v_add_f64 v[66:67], v[94:95], -v[98:99]
	v_add_f64 v[36:37], v[36:37], v[70:71]
	v_fma_f64 v[18:19], v[31:32], s[2:3], v[42:43]
	v_fma_f64 v[42:43], v[31:32], s[4:5], v[42:43]
	v_add_f64 v[31:32], v[12:13], v[74:75]
	v_add_f64 v[70:71], v[104:105], -v[108:109]
	v_add_f64 v[38:39], v[38:39], v[72:73]
	ds_write_b128 v21, v[36:39]
	ds_write_b128 v21, v[16:19] offset:240
	ds_write_b128 v21, v[40:43] offset:480
	v_add_f64 v[44:45], v[31:32], v[82:83]
	v_add_f64 v[31:32], v[74:75], v[82:83]
	v_add_f64 v[74:75], v[102:103], -v[106:107]
	v_mul_lo_u16_sdwa v21, v126, s23 dst_sel:DWORD dst_unused:UNUSED_PAD src0_sel:BYTE_0 src1_sel:DWORD
	v_sub_u16_sdwa v22, v126, v21 dst_sel:DWORD dst_unused:UNUSED_PAD src0_sel:DWORD src1_sel:BYTE_1
	v_mad_legacy_u16 v16, v23, 45, v24
	v_lshrrev_b16_e32 v22, 1, v22
	v_lshlrev_b32_e32 v16, 4, v16
	v_and_b32_e32 v22, 0x7f, v22
	v_fma_f64 v[31:32], v[31:32], -0.5, v[12:13]
	buffer_store_dword v16, off, s[28:31], 0 offset:560 ; 4-byte Folded Spill
	v_add_u16_sdwa v21, v22, v21 dst_sel:DWORD dst_unused:UNUSED_PAD src0_sel:DWORD src1_sel:BYTE_1
	v_lshrrev_b16_e32 v21, 5, v21
	v_mul_lo_u16_e32 v22, 45, v21
	v_sub_u16_e32 v22, v126, v22
	v_and_b32_e32 v22, 0xff, v22
	v_mul_u32_u24_e32 v21, 0x87, v21
	v_fma_f64 v[12:13], v[46:47], s[4:5], v[31:32]
	v_fma_f64 v[48:49], v[46:47], s[2:3], v[31:32]
	v_add_f64 v[31:32], v[14:15], v[80:81]
	v_add_lshl_u32 v21, v21, v22, 4
	s_movk_i32 s23, 0xff79
	v_add_f64 v[46:47], v[31:32], v[84:85]
	v_add_f64 v[31:32], v[80:81], v[84:85]
	v_fma_f64 v[31:32], v[31:32], -0.5, v[14:15]
	v_fma_f64 v[14:15], v[50:51], s[2:3], v[31:32]
	v_fma_f64 v[50:51], v[50:51], s[4:5], v[31:32]
	v_add_f64 v[31:32], v[8:9], v[86:87]
	ds_write_b128 v16, v[44:47]
	ds_write_b128 v16, v[12:15] offset:240
	ds_write_b128 v16, v[48:51] offset:480
	v_mad_legacy_u16 v12, v25, 45, v26
	v_lshlrev_b32_e32 v12, 4, v12
	v_add_f64 v[52:53], v[31:32], v[90:91]
	v_add_f64 v[31:32], v[86:87], v[90:91]
	buffer_store_dword v12, off, s[28:31], 0 offset:556 ; 4-byte Folded Spill
	v_fma_f64 v[31:32], v[31:32], -0.5, v[8:9]
	v_fma_f64 v[8:9], v[54:55], s[4:5], v[31:32]
	v_fma_f64 v[56:57], v[54:55], s[2:3], v[31:32]
	v_add_f64 v[31:32], v[10:11], v[88:89]
	v_add_f64 v[54:55], v[31:32], v[92:93]
	v_add_f64 v[31:32], v[88:89], v[92:93]
	v_fma_f64 v[31:32], v[31:32], -0.5, v[10:11]
	v_fma_f64 v[10:11], v[58:59], s[2:3], v[31:32]
	v_fma_f64 v[58:59], v[58:59], s[4:5], v[31:32]
	v_add_f64 v[31:32], v[4:5], v[94:95]
	ds_write_b128 v12, v[52:55]
	ds_write_b128 v12, v[8:11] offset:240
	ds_write_b128 v12, v[56:59] offset:480
	v_mad_legacy_u16 v8, v27, 45, v28
	v_lshlrev_b32_e32 v8, 4, v8
	v_add_f64 v[60:61], v[31:32], v[98:99]
	v_add_f64 v[31:32], v[94:95], v[98:99]
	buffer_store_dword v8, off, s[28:31], 0 offset:552 ; 4-byte Folded Spill
	v_fma_f64 v[31:32], v[31:32], -0.5, v[4:5]
	v_fma_f64 v[4:5], v[62:63], s[4:5], v[31:32]
	v_fma_f64 v[64:65], v[62:63], s[2:3], v[31:32]
	v_add_f64 v[31:32], v[6:7], v[96:97]
	;; [unrolled: 18-line block ×3, first 2 shown]
	v_add_f64 v[70:71], v[31:32], v[108:109]
	v_add_f64 v[31:32], v[104:105], v[108:109]
	v_fma_f64 v[31:32], v[31:32], -0.5, v[2:3]
	v_fma_f64 v[2:3], v[74:75], s[2:3], v[31:32]
	v_fma_f64 v[74:75], v[74:75], s[4:5], v[31:32]
	v_lshlrev_b32_e32 v31, 5, v22
	ds_write_b128 v4, v[68:71]
	ds_write_b128 v4, v[0:3] offset:240
	ds_write_b128 v4, v[72:75] offset:480
	s_waitcnt vmcnt(0) lgkmcnt(0)
	s_barrier
	ds_read_b128 v[16:19], v125
	ds_read_b128 v[23:26], v125 offset:19440
	ds_read_b128 v[27:30], v125 offset:38880
	;; [unrolled: 1-line block ×14, first 2 shown]
	global_load_dwordx4 v[140:143], v31, s[10:11] offset:656
	global_load_dwordx4 v[144:147], v31, s[10:11] offset:640
	s_movk_i32 s11, 0x2d83
	s_waitcnt vmcnt(0) lgkmcnt(13)
	v_mul_f64 v[31:32], v[25:26], v[146:147]
	v_fma_f64 v[31:32], v[23:24], v[144:145], -v[31:32]
	v_mul_f64 v[23:24], v[23:24], v[146:147]
	v_fma_f64 v[68:69], v[25:26], v[144:145], v[23:24]
	s_waitcnt lgkmcnt(12)
	v_mul_f64 v[23:24], v[29:30], v[142:143]
	v_fma_f64 v[70:71], v[27:28], v[140:141], -v[23:24]
	v_mul_f64 v[23:24], v[27:28], v[142:143]
	v_fma_f64 v[72:73], v[29:30], v[140:141], v[23:24]
	v_mul_u32_u24_sdwa v23, v77, s11 dst_sel:DWORD dst_unused:UNUSED_PAD src0_sel:WORD_0 src1_sel:DWORD
	v_lshrrev_b32_e32 v23, 19, v23
	v_mul_lo_u16_e32 v24, 45, v23
	v_sub_u16_e32 v24, v77, v24
	v_lshlrev_b16_e32 v25, 5, v24
	v_add_co_u32_e32 v25, vcc, s10, v25
	v_addc_co_u32_e32 v26, vcc, 0, v20, vcc
	global_load_dwordx4 v[148:151], v[25:26], off offset:656
	global_load_dwordx4 v[152:155], v[25:26], off offset:640
	v_add_f64 v[29:30], v[31:32], v[70:71]
	v_fma_f64 v[29:30], v[29:30], -0.5, v[16:17]
	s_waitcnt vmcnt(0) lgkmcnt(10)
	v_mul_f64 v[25:26], v[38:39], v[154:155]
	v_fma_f64 v[74:75], v[36:37], v[152:153], -v[25:26]
	v_mul_f64 v[25:26], v[36:37], v[154:155]
	v_add_f64 v[36:37], v[68:69], -v[72:73]
	v_fma_f64 v[80:81], v[38:39], v[152:153], v[25:26]
	s_waitcnt lgkmcnt(9)
	v_mul_f64 v[25:26], v[42:43], v[150:151]
	v_add_f64 v[38:39], v[68:69], v[72:73]
	v_fma_f64 v[82:83], v[40:41], v[148:149], -v[25:26]
	v_mul_f64 v[25:26], v[40:41], v[150:151]
	v_fma_f64 v[38:39], v[38:39], -0.5, v[18:19]
	v_fma_f64 v[84:85], v[42:43], v[148:149], v[25:26]
	v_mul_u32_u24_sdwa v25, v78, s11 dst_sel:DWORD dst_unused:UNUSED_PAD src0_sel:WORD_0 src1_sel:DWORD
	v_lshrrev_b32_e32 v25, 19, v25
	v_mul_lo_u16_e32 v26, 45, v25
	v_sub_u16_e32 v26, v78, v26
	v_lshlrev_b16_e32 v27, 5, v26
	v_add_co_u32_e32 v27, vcc, s10, v27
	v_addc_co_u32_e32 v28, vcc, 0, v20, vcc
	global_load_dwordx4 v[156:159], v[27:28], off offset:656
	global_load_dwordx4 v[160:163], v[27:28], off offset:640
	v_add_f64 v[42:43], v[80:81], -v[84:85]
	s_waitcnt vmcnt(0) lgkmcnt(7)
	v_mul_f64 v[27:28], v[46:47], v[162:163]
	v_fma_f64 v[86:87], v[44:45], v[160:161], -v[27:28]
	v_mul_f64 v[27:28], v[44:45], v[162:163]
	v_fma_f64 v[88:89], v[46:47], v[160:161], v[27:28]
	s_waitcnt lgkmcnt(6)
	v_mul_f64 v[27:28], v[50:51], v[158:159]
	v_add_f64 v[46:47], v[74:75], -v[82:83]
	v_fma_f64 v[90:91], v[48:49], v[156:157], -v[27:28]
	v_mul_f64 v[27:28], v[48:49], v[158:159]
	v_fma_f64 v[92:93], v[50:51], v[156:157], v[27:28]
	v_mul_u32_u24_sdwa v27, v35, s11 dst_sel:DWORD dst_unused:UNUSED_PAD src0_sel:WORD_0 src1_sel:DWORD
	v_lshrrev_b32_e32 v110, 19, v27
	v_mul_lo_u16_e32 v27, 45, v110
	v_sub_u16_e32 v111, v35, v27
	v_lshlrev_b16_e32 v27, 5, v111
	v_add_co_u32_e32 v27, vcc, s10, v27
	v_addc_co_u32_e32 v28, vcc, 0, v20, vcc
	global_load_dwordx4 v[164:167], v[27:28], off offset:656
	global_load_dwordx4 v[168:171], v[27:28], off offset:640
	v_add_f64 v[50:51], v[88:89], -v[92:93]
	s_waitcnt vmcnt(0) lgkmcnt(4)
	v_mul_f64 v[27:28], v[54:55], v[170:171]
	v_fma_f64 v[94:95], v[52:53], v[168:169], -v[27:28]
	v_mul_f64 v[27:28], v[52:53], v[170:171]
	v_fma_f64 v[96:97], v[54:55], v[168:169], v[27:28]
	s_waitcnt lgkmcnt(3)
	v_mul_f64 v[27:28], v[58:59], v[166:167]
	v_add_f64 v[54:55], v[86:87], -v[90:91]
	v_fma_f64 v[98:99], v[56:57], v[164:165], -v[27:28]
	v_mul_f64 v[27:28], v[56:57], v[166:167]
	v_fma_f64 v[100:101], v[58:59], v[164:165], v[27:28]
	v_mul_u32_u24_sdwa v27, v76, s11 dst_sel:DWORD dst_unused:UNUSED_PAD src0_sel:WORD_0 src1_sel:DWORD
	v_lshrrev_b32_e32 v112, 19, v27
	v_mul_lo_u16_e32 v27, 45, v112
	v_sub_u16_e32 v113, v76, v27
	v_lshlrev_b16_e32 v27, 5, v113
	v_add_co_u32_e32 v27, vcc, s10, v27
	v_addc_co_u32_e32 v28, vcc, 0, v20, vcc
	global_load_dwordx4 v[176:179], v[27:28], off offset:656
	global_load_dwordx4 v[180:183], v[27:28], off offset:640
	v_add_f64 v[58:59], v[96:97], -v[100:101]
	s_movk_i32 s11, 0x87
	s_waitcnt vmcnt(0) lgkmcnt(0)
	s_barrier
	buffer_store_dword v21, off, s[28:31], 0 offset:584 ; 4-byte Folded Spill
	v_mul_f64 v[27:28], v[62:63], v[182:183]
	v_fma_f64 v[102:103], v[60:61], v[180:181], -v[27:28]
	v_mul_f64 v[27:28], v[60:61], v[182:183]
	v_fma_f64 v[104:105], v[62:63], v[180:181], v[27:28]
	v_mul_f64 v[27:28], v[66:67], v[178:179]
	v_add_f64 v[62:63], v[94:95], -v[98:99]
	v_fma_f64 v[106:107], v[64:65], v[176:177], -v[27:28]
	v_mul_f64 v[27:28], v[64:65], v[178:179]
	v_fma_f64 v[108:109], v[66:67], v[176:177], v[27:28]
	v_add_f64 v[27:28], v[16:17], v[31:32]
	v_add_f64 v[31:32], v[31:32], -v[70:71]
	v_fma_f64 v[16:17], v[36:37], s[4:5], v[29:30]
	v_fma_f64 v[36:37], v[36:37], s[2:3], v[29:30]
	v_add_f64 v[29:30], v[18:19], v[68:69]
	v_add_f64 v[66:67], v[104:105], -v[108:109]
	v_add_f64 v[27:28], v[27:28], v[70:71]
	v_fma_f64 v[18:19], v[31:32], s[2:3], v[38:39]
	v_fma_f64 v[38:39], v[31:32], s[4:5], v[38:39]
	v_add_f64 v[31:32], v[12:13], v[74:75]
	v_add_f64 v[29:30], v[29:30], v[72:73]
	v_add_f64 v[70:71], v[102:103], -v[106:107]
	ds_write_b128 v21, v[27:30]
	ds_write_b128 v21, v[16:19] offset:720
	ds_write_b128 v21, v[36:39] offset:1440
	v_add_f64 v[40:41], v[31:32], v[82:83]
	v_add_f64 v[31:32], v[74:75], v[82:83]
	v_mad_legacy_u16 v16, v23, s11, v24
	v_lshlrev_b32_e32 v16, 4, v16
	buffer_store_dword v16, off, s[28:31], 0 offset:568 ; 4-byte Folded Spill
	v_fma_f64 v[31:32], v[31:32], -0.5, v[12:13]
	v_fma_f64 v[12:13], v[42:43], s[4:5], v[31:32]
	v_fma_f64 v[44:45], v[42:43], s[2:3], v[31:32]
	v_add_f64 v[31:32], v[14:15], v[80:81]
	v_add_f64 v[42:43], v[31:32], v[84:85]
	;; [unrolled: 1-line block ×3, first 2 shown]
	v_fma_f64 v[31:32], v[31:32], -0.5, v[14:15]
	v_fma_f64 v[14:15], v[46:47], s[2:3], v[31:32]
	v_fma_f64 v[46:47], v[46:47], s[4:5], v[31:32]
	v_add_f64 v[31:32], v[8:9], v[86:87]
	ds_write_b128 v16, v[40:43]
	ds_write_b128 v16, v[12:15] offset:720
	ds_write_b128 v16, v[44:47] offset:1440
	v_add_co_u32_e32 v16, vcc, s23, v126
	v_add_f64 v[48:49], v[31:32], v[90:91]
	v_add_f64 v[31:32], v[86:87], v[90:91]
	v_mad_legacy_u16 v12, v25, s11, v26
	v_addc_co_u32_e64 v17, s[24:25], 0, -1, vcc
	v_cmp_gt_u16_e32 vcc, s11, v126
	v_lshlrev_b32_e32 v12, 4, v12
	v_cndmask_b32_e64 v17, v17, 0, vcc
	v_cndmask_b32_e32 v16, v16, v126, vcc
	v_fma_f64 v[31:32], v[31:32], -0.5, v[8:9]
	buffer_store_dword v12, off, s[28:31], 0 offset:572 ; 4-byte Folded Spill
	v_lshlrev_b64 v[17:18], 5, v[16:17]
	s_movk_i32 s23, 0x1900
	v_add_co_u32_e32 v17, vcc, s10, v17
	v_addc_co_u32_e32 v18, vcc, v20, v18, vcc
	v_fma_f64 v[8:9], v[50:51], s[4:5], v[31:32]
	v_fma_f64 v[52:53], v[50:51], s[2:3], v[31:32]
	v_add_f64 v[31:32], v[10:11], v[88:89]
	s_movk_i32 s24, 0xff5e
	v_add_f64 v[50:51], v[31:32], v[92:93]
	v_add_f64 v[31:32], v[88:89], v[92:93]
	v_fma_f64 v[31:32], v[31:32], -0.5, v[10:11]
	v_fma_f64 v[10:11], v[54:55], s[2:3], v[31:32]
	v_fma_f64 v[54:55], v[54:55], s[4:5], v[31:32]
	v_add_f64 v[31:32], v[4:5], v[94:95]
	ds_write_b128 v12, v[48:51]
	ds_write_b128 v12, v[8:11] offset:720
	ds_write_b128 v12, v[52:55] offset:1440
	v_mad_legacy_u16 v8, v110, s11, v111
	v_lshlrev_b32_e32 v8, 4, v8
	v_add_f64 v[56:57], v[31:32], v[98:99]
	v_add_f64 v[31:32], v[94:95], v[98:99]
	buffer_store_dword v8, off, s[28:31], 0 offset:576 ; 4-byte Folded Spill
	v_fma_f64 v[31:32], v[31:32], -0.5, v[4:5]
	v_fma_f64 v[4:5], v[58:59], s[4:5], v[31:32]
	v_fma_f64 v[60:61], v[58:59], s[2:3], v[31:32]
	v_add_f64 v[31:32], v[6:7], v[96:97]
	v_add_f64 v[58:59], v[31:32], v[100:101]
	;; [unrolled: 1-line block ×3, first 2 shown]
	v_fma_f64 v[31:32], v[31:32], -0.5, v[6:7]
	v_fma_f64 v[6:7], v[62:63], s[2:3], v[31:32]
	v_fma_f64 v[62:63], v[62:63], s[4:5], v[31:32]
	v_add_f64 v[31:32], v[0:1], v[102:103]
	ds_write_b128 v8, v[56:59]
	ds_write_b128 v8, v[4:7] offset:720
	ds_write_b128 v8, v[60:63] offset:1440
	v_mad_legacy_u16 v4, v112, s11, v113
	v_lshlrev_b32_e32 v4, 4, v4
	v_add_f64 v[64:65], v[31:32], v[106:107]
	v_add_f64 v[31:32], v[102:103], v[106:107]
	buffer_store_dword v4, off, s[28:31], 0 offset:580 ; 4-byte Folded Spill
	s_movk_i32 s11, 0x795d
	v_fma_f64 v[31:32], v[31:32], -0.5, v[0:1]
	v_fma_f64 v[0:1], v[66:67], s[4:5], v[31:32]
	v_fma_f64 v[68:69], v[66:67], s[2:3], v[31:32]
	v_add_f64 v[31:32], v[2:3], v[104:105]
	v_add_f64 v[66:67], v[31:32], v[108:109]
	;; [unrolled: 1-line block ×3, first 2 shown]
	v_fma_f64 v[31:32], v[31:32], -0.5, v[2:3]
	v_fma_f64 v[2:3], v[70:71], s[2:3], v[31:32]
	v_fma_f64 v[70:71], v[70:71], s[4:5], v[31:32]
	ds_write_b128 v4, v[64:67]
	ds_write_b128 v4, v[0:3] offset:720
	ds_write_b128 v4, v[68:71] offset:1440
	s_waitcnt vmcnt(0) lgkmcnt(0)
	s_barrier
	ds_read_b128 v[21:24], v125
	ds_read_b128 v[25:28], v125 offset:19440
	ds_read_b128 v[36:39], v125 offset:38880
	;; [unrolled: 1-line block ×14, first 2 shown]
	global_load_dwordx4 v[172:175], v[17:18], off offset:2096
	global_load_dwordx4 v[184:187], v[17:18], off offset:2080
	s_waitcnt vmcnt(0) lgkmcnt(13)
	v_mul_f64 v[17:18], v[27:28], v[186:187]
	v_fma_f64 v[29:30], v[25:26], v[184:185], -v[17:18]
	v_mul_f64 v[17:18], v[25:26], v[186:187]
	v_fma_f64 v[31:32], v[27:28], v[184:185], v[17:18]
	s_waitcnt lgkmcnt(12)
	v_mul_f64 v[17:18], v[38:39], v[174:175]
	v_fma_f64 v[72:73], v[36:37], v[172:173], -v[17:18]
	v_mul_f64 v[17:18], v[36:37], v[174:175]
	v_add_f64 v[27:28], v[29:30], v[72:73]
	v_fma_f64 v[38:39], v[38:39], v[172:173], v[17:18]
	v_mul_u32_u24_sdwa v17, v77, s11 dst_sel:DWORD dst_unused:UNUSED_PAD src0_sel:WORD_0 src1_sel:DWORD
	v_lshrrev_b32_e32 v17, 22, v17
	v_mul_lo_u16_e32 v18, 0x87, v17
	v_sub_u16_e32 v18, v77, v18
	v_lshlrev_b16_e32 v19, 5, v18
	v_add_co_u32_e32 v25, vcc, s10, v19
	v_addc_co_u32_e32 v26, vcc, 0, v20, vcc
	global_load_dwordx4 v[188:191], v[25:26], off offset:2096
	global_load_dwordx4 v[192:195], v[25:26], off offset:2080
	v_mul_u32_u24_sdwa v19, v78, s11 dst_sel:DWORD dst_unused:UNUSED_PAD src0_sel:WORD_0 src1_sel:DWORD
	v_lshrrev_b32_e32 v19, 22, v19
	v_fma_f64 v[27:28], v[27:28], -0.5, v[21:22]
	v_add_f64 v[36:37], v[31:32], -v[38:39]
	s_waitcnt vmcnt(0) lgkmcnt(10)
	v_mul_f64 v[25:26], v[42:43], v[194:195]
	v_fma_f64 v[74:75], v[40:41], v[192:193], -v[25:26]
	v_mul_f64 v[25:26], v[40:41], v[194:195]
	v_fma_f64 v[80:81], v[42:43], v[192:193], v[25:26]
	s_waitcnt lgkmcnt(9)
	v_mul_f64 v[25:26], v[46:47], v[190:191]
	v_fma_f64 v[82:83], v[44:45], v[188:189], -v[25:26]
	v_mul_f64 v[25:26], v[44:45], v[190:191]
	v_fma_f64 v[46:47], v[46:47], v[188:189], v[25:26]
	v_mul_lo_u16_e32 v25, 0x87, v19
	v_sub_u16_e32 v102, v78, v25
	v_lshlrev_b16_e32 v25, 5, v102
	v_add_co_u32_e32 v25, vcc, s10, v25
	v_addc_co_u32_e32 v26, vcc, 0, v20, vcc
	global_load_dwordx4 v[196:199], v[25:26], off offset:2096
	global_load_dwordx4 v[204:207], v[25:26], off offset:2080
	s_waitcnt vmcnt(0) lgkmcnt(7)
	v_mul_f64 v[25:26], v[50:51], v[206:207]
	v_fma_f64 v[84:85], v[48:49], v[204:205], -v[25:26]
	v_mul_f64 v[25:26], v[48:49], v[206:207]
	v_fma_f64 v[86:87], v[50:51], v[204:205], v[25:26]
	s_waitcnt lgkmcnt(6)
	v_mul_f64 v[25:26], v[54:55], v[198:199]
	v_fma_f64 v[88:89], v[52:53], v[196:197], -v[25:26]
	v_mul_f64 v[25:26], v[52:53], v[198:199]
	v_fma_f64 v[54:55], v[54:55], v[196:197], v[25:26]
	v_mul_u32_u24_sdwa v25, v35, s11 dst_sel:DWORD dst_unused:UNUSED_PAD src0_sel:WORD_0 src1_sel:DWORD
	v_lshrrev_b32_e32 v103, 22, v25
	v_mul_lo_u16_e32 v25, 0x87, v103
	v_sub_u16_e32 v104, v35, v25
	v_lshlrev_b16_e32 v25, 5, v104
	v_add_co_u32_e32 v25, vcc, s10, v25
	v_addc_co_u32_e32 v26, vcc, 0, v20, vcc
	global_load_dwordx4 v[200:203], v[25:26], off offset:2096
	global_load_dwordx4 v[212:215], v[25:26], off offset:2080
	s_waitcnt vmcnt(0) lgkmcnt(4)
	v_mul_f64 v[25:26], v[58:59], v[214:215]
	v_fma_f64 v[90:91], v[56:57], v[212:213], -v[25:26]
	v_mul_f64 v[25:26], v[56:57], v[214:215]
	v_fma_f64 v[92:93], v[58:59], v[212:213], v[25:26]
	s_waitcnt lgkmcnt(3)
	v_mul_f64 v[25:26], v[62:63], v[202:203]
	v_fma_f64 v[94:95], v[60:61], v[200:201], -v[25:26]
	v_mul_f64 v[25:26], v[60:61], v[202:203]
	v_fma_f64 v[62:63], v[62:63], v[200:201], v[25:26]
	v_mul_u32_u24_sdwa v25, v76, s11 dst_sel:DWORD dst_unused:UNUSED_PAD src0_sel:WORD_0 src1_sel:DWORD
	v_lshrrev_b32_e32 v105, 22, v25
	v_mul_lo_u16_e32 v25, 0x87, v105
	v_sub_u16_e32 v106, v76, v25
	v_lshlrev_b16_e32 v25, 5, v106
	v_add_co_u32_e32 v25, vcc, s10, v25
	v_addc_co_u32_e32 v26, vcc, 0, v20, vcc
	global_load_dwordx4 v[216:219], v[25:26], off offset:2096
	global_load_dwordx4 v[224:227], v[25:26], off offset:2080
	s_movk_i32 s11, 0x86
	v_cmp_lt_u16_e32 vcc, s11, v126
	s_movk_i32 s11, 0x195
	s_waitcnt vmcnt(0) lgkmcnt(0)
	s_barrier
	v_mul_f64 v[25:26], v[66:67], v[226:227]
	v_fma_f64 v[96:97], v[64:65], v[224:225], -v[25:26]
	v_mul_f64 v[25:26], v[64:65], v[226:227]
	v_fma_f64 v[98:99], v[66:67], v[224:225], v[25:26]
	v_mul_f64 v[25:26], v[70:71], v[218:219]
	v_fma_f64 v[100:101], v[68:69], v[216:217], -v[25:26]
	v_mul_f64 v[25:26], v[68:69], v[218:219]
	v_fma_f64 v[70:71], v[70:71], v[216:217], v[25:26]
	v_add_f64 v[25:26], v[21:22], v[29:30]
	v_fma_f64 v[21:22], v[36:37], s[4:5], v[27:28]
	v_fma_f64 v[36:37], v[36:37], s[2:3], v[27:28]
	v_add_f64 v[27:28], v[23:24], v[31:32]
	v_add_f64 v[31:32], v[31:32], v[38:39]
	v_add_f64 v[29:30], v[29:30], -v[72:73]
	v_add_f64 v[25:26], v[25:26], v[72:73]
	v_add_f64 v[27:28], v[27:28], v[38:39]
	v_fma_f64 v[31:32], v[31:32], -0.5, v[23:24]
	v_fma_f64 v[23:24], v[29:30], s[2:3], v[31:32]
	v_fma_f64 v[38:39], v[29:30], s[4:5], v[31:32]
	v_add_f64 v[29:30], v[12:13], v[74:75]
	v_add_f64 v[31:32], v[80:81], -v[46:47]
	v_add_f64 v[40:41], v[29:30], v[82:83]
	v_add_f64 v[29:30], v[74:75], v[82:83]
	v_fma_f64 v[29:30], v[29:30], -0.5, v[12:13]
	v_fma_f64 v[12:13], v[31:32], s[4:5], v[29:30]
	v_fma_f64 v[44:45], v[31:32], s[2:3], v[29:30]
	;; [unrolled: 7-line block ×9, first 2 shown]
	v_mov_b32_e32 v29, 0x195
	v_cndmask_b32_e32 v29, 0, v29, vcc
	v_add_lshl_u32 v16, v16, v29, 4
	buffer_store_dword v16, off, s[28:31], 0 offset:588 ; 4-byte Folded Spill
	ds_write_b128 v16, v[25:28]
	ds_write_b128 v16, v[21:24] offset:2160
	ds_write_b128 v16, v[36:39] offset:4320
	v_mad_legacy_u16 v16, v17, s11, v18
	v_lshlrev_b32_e32 v16, 4, v16
	buffer_store_dword v16, off, s[28:31], 0 offset:592 ; 4-byte Folded Spill
	ds_write_b128 v16, v[40:43]
	ds_write_b128 v16, v[12:15] offset:2160
	ds_write_b128 v16, v[44:47] offset:4320
	v_lshlrev_b32_e32 v16, 5, v126
	v_mad_legacy_u16 v12, v19, s11, v102
	v_add_co_u32_e32 v18, vcc, s10, v16
	v_lshlrev_b32_e32 v12, 4, v12
	v_addc_co_u32_e32 v19, vcc, 0, v20, vcc
	buffer_store_dword v12, off, s[28:31], 0 offset:596 ; 4-byte Folded Spill
	ds_write_b128 v12, v[48:51]
	ds_write_b128 v12, v[8:11] offset:2160
	ds_write_b128 v12, v[52:55] offset:4320
	v_mad_legacy_u16 v8, v103, s11, v104
	v_add_co_u32_e32 v16, vcc, s23, v18
	v_lshlrev_b32_e32 v8, 4, v8
	v_addc_co_u32_e32 v17, vcc, 0, v19, vcc
	buffer_store_dword v8, off, s[28:31], 0 offset:600 ; 4-byte Folded Spill
	ds_write_b128 v8, v[56:59]
	ds_write_b128 v8, v[4:7] offset:2160
	ds_write_b128 v8, v[60:63] offset:4320
	;; [unrolled: 8-line block ×3, first 2 shown]
	s_waitcnt vmcnt(0) lgkmcnt(0)
	s_barrier
	ds_read_b128 v[21:24], v125
	ds_read_b128 v[25:28], v125 offset:19440
	ds_read_b128 v[36:39], v125 offset:38880
	;; [unrolled: 1-line block ×14, first 2 shown]
	global_load_dwordx4 v[220:223], v[29:30], off offset:2304
	global_load_dwordx4 v[208:211], v[16:17], off offset:16
	s_waitcnt vmcnt(1) lgkmcnt(13)
	v_mul_f64 v[16:17], v[27:28], v[222:223]
	v_fma_f64 v[29:30], v[25:26], v[220:221], -v[16:17]
	v_mul_f64 v[16:17], v[25:26], v[222:223]
	v_fma_f64 v[31:32], v[27:28], v[220:221], v[16:17]
	s_waitcnt vmcnt(0) lgkmcnt(12)
	v_mul_f64 v[16:17], v[38:39], v[210:211]
	v_fma_f64 v[72:73], v[36:37], v[208:209], -v[16:17]
	v_mul_f64 v[16:17], v[36:37], v[210:211]
	v_fma_f64 v[38:39], v[38:39], v[208:209], v[16:17]
	v_add_co_u32_e32 v16, vcc, s24, v126
	v_addc_co_u32_e64 v17, s[24:25], 0, -1, vcc
	s_movk_i32 s24, 0xa2
	v_cmp_gt_u16_e32 vcc, s24, v126
	v_cndmask_b32_e32 v17, v17, v79, vcc
	v_cndmask_b32_e32 v16, v16, v77, vcc
	v_lshlrev_b64 v[25:26], 5, v[16:17]
	s_movk_i32 s24, 0x2320
	v_add_co_u32_e32 v17, vcc, s10, v25
	v_addc_co_u32_e32 v28, vcc, v20, v26, vcc
	v_add_co_u32_e32 v25, vcc, s23, v17
	v_addc_co_u32_e32 v26, vcc, 0, v28, vcc
	;; [unrolled: 2-line block ×3, first 2 shown]
	global_load_dwordx4 v[232:235], v[27:28], off offset:2304
	global_load_dwordx4 v[228:231], v[25:26], off offset:16
	v_add_f64 v[36:37], v[31:32], -v[38:39]
	s_waitcnt vmcnt(1) lgkmcnt(10)
	v_mul_f64 v[25:26], v[42:43], v[234:235]
	v_fma_f64 v[74:75], v[40:41], v[232:233], -v[25:26]
	v_mul_f64 v[25:26], v[40:41], v[234:235]
	v_fma_f64 v[79:80], v[42:43], v[232:233], v[25:26]
	s_waitcnt vmcnt(0) lgkmcnt(9)
	v_mul_f64 v[25:26], v[46:47], v[230:231]
	v_fma_f64 v[81:82], v[44:45], v[228:229], -v[25:26]
	v_mul_f64 v[25:26], v[44:45], v[230:231]
	v_fma_f64 v[46:47], v[46:47], v[228:229], v[25:26]
	v_add_co_u32_e32 v25, vcc, s24, v18
	v_addc_co_u32_e32 v26, vcc, 0, v19, vcc
	v_add_co_u32_e32 v27, vcc, s21, v18
	v_addc_co_u32_e32 v28, vcc, 0, v19, vcc
	global_load_dwordx4 v[240:243], v[27:28], off offset:800
	global_load_dwordx4 v[236:239], v[25:26], off offset:16
	s_movk_i32 s21, 0x43a3
	v_mul_u32_u24_sdwa v17, v35, s21 dst_sel:DWORD dst_unused:UNUSED_PAD src0_sel:WORD_0 src1_sel:DWORD
	s_waitcnt vmcnt(1) lgkmcnt(7)
	v_mul_f64 v[25:26], v[50:51], v[242:243]
	v_fma_f64 v[83:84], v[48:49], v[240:241], -v[25:26]
	v_mul_f64 v[25:26], v[48:49], v[242:243]
	v_fma_f64 v[85:86], v[50:51], v[240:241], v[25:26]
	s_waitcnt vmcnt(0) lgkmcnt(6)
	v_mul_f64 v[25:26], v[54:55], v[238:239]
	v_fma_f64 v[87:88], v[52:53], v[236:237], -v[25:26]
	v_mul_f64 v[25:26], v[52:53], v[238:239]
	v_fma_f64 v[54:55], v[54:55], v[236:237], v[25:26]
	v_sub_u16_sdwa v25, v35, v17 dst_sel:DWORD dst_unused:UNUSED_PAD src0_sel:DWORD src1_sel:WORD_1
	v_lshrrev_b16_e32 v25, 1, v25
	v_add_u16_sdwa v17, v25, v17 dst_sel:DWORD dst_unused:UNUSED_PAD src0_sel:DWORD src1_sel:WORD_1
	v_lshrrev_b16_e32 v17, 8, v17
	v_mul_lo_u16_e32 v25, 0x195, v17
	v_sub_u16_e32 v101, v35, v25
	v_lshlrev_b16_e32 v25, 5, v101
	v_add_co_u32_e32 v27, vcc, s10, v25
	v_addc_co_u32_e32 v28, vcc, 0, v20, vcc
	v_add_co_u32_e32 v25, vcc, s23, v27
	v_addc_co_u32_e32 v26, vcc, 0, v28, vcc
	;; [unrolled: 2-line block ×3, first 2 shown]
	global_load_dwordx4 v[252:255], v[27:28], off offset:2304
	global_load_dwordx4 v[244:247], v[25:26], off offset:16
	s_waitcnt vmcnt(1) lgkmcnt(4)
	v_mul_f64 v[25:26], v[58:59], v[254:255]
	v_fma_f64 v[89:90], v[56:57], v[252:253], -v[25:26]
	v_mul_f64 v[25:26], v[56:57], v[254:255]
	v_fma_f64 v[91:92], v[58:59], v[252:253], v[25:26]
	s_waitcnt vmcnt(0) lgkmcnt(3)
	v_mul_f64 v[25:26], v[62:63], v[246:247]
	v_fma_f64 v[93:94], v[60:61], v[244:245], -v[25:26]
	v_mul_f64 v[25:26], v[60:61], v[246:247]
	v_fma_f64 v[62:63], v[62:63], v[244:245], v[25:26]
	v_mul_u32_u24_sdwa v25, v76, s21 dst_sel:DWORD dst_unused:UNUSED_PAD src0_sel:WORD_0 src1_sel:DWORD
	v_sub_u16_sdwa v26, v76, v25 dst_sel:DWORD dst_unused:UNUSED_PAD src0_sel:DWORD src1_sel:WORD_1
	v_lshrrev_b16_e32 v26, 1, v26
	v_add_u16_sdwa v25, v26, v25 dst_sel:DWORD dst_unused:UNUSED_PAD src0_sel:DWORD src1_sel:WORD_1
	v_mul_lo_u16_sdwa v25, v25, s11 dst_sel:DWORD dst_unused:UNUSED_PAD src0_sel:BYTE_1 src1_sel:DWORD
	v_sub_u16_e32 v102, v76, v25
	v_lshlrev_b16_e32 v25, 5, v102
	v_add_co_u32_e32 v27, vcc, s10, v25
	v_addc_co_u32_e32 v28, vcc, 0, v20, vcc
	v_add_co_u32_e32 v25, vcc, s23, v27
	v_addc_co_u32_e32 v26, vcc, 0, v28, vcc
	;; [unrolled: 2-line block ×3, first 2 shown]
	global_load_dwordx4 v[109:112], v[27:28], off offset:2304
	global_load_dwordx4 v[113:116], v[25:26], off offset:16
	v_add_f64 v[27:28], v[29:30], v[72:73]
	s_movk_i32 s11, 0xa1
	s_waitcnt vmcnt(0) lgkmcnt(0)
	s_barrier
	v_cmp_lt_u16_e32 vcc, s11, v126
	s_movk_i32 s11, 0x4bf
	v_fma_f64 v[27:28], v[27:28], -0.5, v[21:22]
	v_mul_f64 v[25:26], v[66:67], v[111:112]
	v_fma_f64 v[95:96], v[64:65], v[109:110], -v[25:26]
	v_mul_f64 v[25:26], v[64:65], v[111:112]
	v_fma_f64 v[97:98], v[66:67], v[109:110], v[25:26]
	v_mul_f64 v[25:26], v[70:71], v[115:116]
	v_fma_f64 v[99:100], v[68:69], v[113:114], -v[25:26]
	v_mul_f64 v[25:26], v[68:69], v[115:116]
	v_fma_f64 v[70:71], v[70:71], v[113:114], v[25:26]
	v_add_f64 v[25:26], v[21:22], v[29:30]
	v_fma_f64 v[21:22], v[36:37], s[4:5], v[27:28]
	v_fma_f64 v[36:37], v[36:37], s[2:3], v[27:28]
	v_add_f64 v[27:28], v[23:24], v[31:32]
	v_add_f64 v[31:32], v[31:32], v[38:39]
	v_add_f64 v[29:30], v[29:30], -v[72:73]
	v_add_f64 v[25:26], v[25:26], v[72:73]
	v_add_f64 v[27:28], v[27:28], v[38:39]
	v_fma_f64 v[31:32], v[31:32], -0.5, v[23:24]
	v_fma_f64 v[23:24], v[29:30], s[2:3], v[31:32]
	v_fma_f64 v[38:39], v[29:30], s[4:5], v[31:32]
	v_add_f64 v[29:30], v[12:13], v[74:75]
	v_add_f64 v[31:32], v[79:80], -v[46:47]
	ds_write_b128 v125, v[25:28]
	ds_write_b128 v125, v[21:24] offset:6480
	ds_write_b128 v125, v[36:39] offset:12960
	v_mov_b32_e32 v21, 0x4bf
	v_cndmask_b32_e32 v21, 0, v21, vcc
	v_add_f64 v[40:41], v[29:30], v[81:82]
	v_add_f64 v[29:30], v[74:75], v[81:82]
	v_add_lshl_u32 v16, v16, v21, 4
	buffer_store_dword v16, off, s[28:31], 0 offset:608 ; 4-byte Folded Spill
	v_fma_f64 v[29:30], v[29:30], -0.5, v[12:13]
	v_fma_f64 v[12:13], v[31:32], s[4:5], v[29:30]
	v_fma_f64 v[44:45], v[31:32], s[2:3], v[29:30]
	v_add_f64 v[29:30], v[14:15], v[79:80]
	v_add_f64 v[31:32], v[74:75], -v[81:82]
	v_add_f64 v[42:43], v[29:30], v[46:47]
	v_add_f64 v[29:30], v[79:80], v[46:47]
	v_fma_f64 v[29:30], v[29:30], -0.5, v[14:15]
	v_fma_f64 v[14:15], v[31:32], s[2:3], v[29:30]
	v_fma_f64 v[46:47], v[31:32], s[4:5], v[29:30]
	v_add_f64 v[29:30], v[8:9], v[83:84]
	v_add_f64 v[31:32], v[85:86], -v[54:55]
	v_add_f64 v[48:49], v[29:30], v[87:88]
	v_add_f64 v[29:30], v[83:84], v[87:88]
	;; [unrolled: 7-line block ×3, first 2 shown]
	v_fma_f64 v[29:30], v[29:30], -0.5, v[10:11]
	v_fma_f64 v[10:11], v[31:32], s[2:3], v[29:30]
	v_fma_f64 v[54:55], v[31:32], s[4:5], v[29:30]
	v_add_f64 v[29:30], v[4:5], v[89:90]
	v_add_f64 v[31:32], v[91:92], -v[62:63]
	ds_write_b128 v16, v[40:43]
	ds_write_b128 v16, v[12:15] offset:6480
	ds_write_b128 v16, v[44:47] offset:12960
	;; [unrolled: 1-line block ×5, first 2 shown]
	v_mad_legacy_u16 v8, v17, s11, v101
	s_movk_i32 s11, 0x4ba0
	v_add_co_u32_e32 v16, vcc, s11, v18
	v_addc_co_u32_e32 v17, vcc, 0, v19, vcc
	v_add_f64 v[56:57], v[29:30], v[93:94]
	v_add_f64 v[29:30], v[89:90], v[93:94]
	v_lshlrev_b32_e32 v8, 4, v8
	v_add_co_u32_e32 v18, vcc, s20, v18
	buffer_store_dword v8, off, s[28:31], 0 offset:612 ; 4-byte Folded Spill
	v_addc_co_u32_e32 v19, vcc, 0, v19, vcc
	v_fma_f64 v[29:30], v[29:30], -0.5, v[4:5]
	v_fma_f64 v[4:5], v[31:32], s[4:5], v[29:30]
	v_fma_f64 v[60:61], v[31:32], s[2:3], v[29:30]
	v_add_f64 v[29:30], v[6:7], v[91:92]
	v_add_f64 v[31:32], v[89:90], -v[93:94]
	v_add_f64 v[58:59], v[29:30], v[62:63]
	v_add_f64 v[29:30], v[91:92], v[62:63]
	v_fma_f64 v[29:30], v[29:30], -0.5, v[6:7]
	v_fma_f64 v[6:7], v[31:32], s[2:3], v[29:30]
	v_fma_f64 v[62:63], v[31:32], s[4:5], v[29:30]
	v_add_f64 v[29:30], v[0:1], v[95:96]
	v_add_f64 v[31:32], v[97:98], -v[70:71]
	ds_write_b128 v8, v[56:59]
	ds_write_b128 v8, v[4:7] offset:6480
	ds_write_b128 v8, v[60:63] offset:12960
	v_lshlrev_b32_e32 v4, 4, v102
	buffer_store_dword v4, off, s[28:31], 0 offset:616 ; 4-byte Folded Spill
	v_add_f64 v[64:65], v[29:30], v[99:100]
	v_add_f64 v[29:30], v[95:96], v[99:100]
	v_fma_f64 v[29:30], v[29:30], -0.5, v[0:1]
	v_fma_f64 v[0:1], v[31:32], s[4:5], v[29:30]
	v_fma_f64 v[68:69], v[31:32], s[2:3], v[29:30]
	v_add_f64 v[29:30], v[2:3], v[97:98]
	v_add_f64 v[31:32], v[95:96], -v[99:100]
	v_add_f64 v[66:67], v[29:30], v[70:71]
	v_add_f64 v[29:30], v[97:98], v[70:71]
	v_fma_f64 v[29:30], v[29:30], -0.5, v[2:3]
	v_fma_f64 v[2:3], v[31:32], s[2:3], v[29:30]
	v_fma_f64 v[70:71], v[31:32], s[4:5], v[29:30]
	ds_write_b128 v4, v[64:67] offset:38880
	ds_write_b128 v4, v[0:3] offset:45360
	;; [unrolled: 1-line block ×3, first 2 shown]
	s_waitcnt vmcnt(0) lgkmcnt(0)
	s_barrier
	ds_read_b128 v[12:15], v125
	ds_read_b128 v[21:24], v125 offset:19440
	ds_read_b128 v[25:28], v125 offset:38880
	;; [unrolled: 1-line block ×14, first 2 shown]
	global_load_dwordx4 v[121:124], v[18:19], off offset:2976
	global_load_dwordx4 v[248:251], v[16:17], off offset:16
	s_waitcnt vmcnt(1) lgkmcnt(13)
	v_mul_f64 v[16:17], v[23:24], v[123:124]
	v_fma_f64 v[29:30], v[21:22], v[121:122], -v[16:17]
	v_mul_f64 v[16:17], v[21:22], v[123:124]
	v_fma_f64 v[22:23], v[23:24], v[121:122], v[16:17]
	s_waitcnt vmcnt(0) lgkmcnt(12)
	v_mul_f64 v[16:17], v[27:28], v[250:251]
	v_fma_f64 v[31:32], v[25:26], v[248:249], -v[16:17]
	v_mul_f64 v[16:17], v[25:26], v[250:251]
	v_fma_f64 v[24:25], v[27:28], v[248:249], v[16:17]
	v_lshlrev_b32_e32 v16, 5, v77
	v_add_co_u32_e32 v18, vcc, s10, v16
	v_addc_co_u32_e32 v19, vcc, 0, v20, vcc
	v_add_co_u32_e32 v16, vcc, s11, v18
	v_addc_co_u32_e32 v17, vcc, 0, v19, vcc
	;; [unrolled: 2-line block ×3, first 2 shown]
	global_load_dwordx4 v[105:108], v[18:19], off offset:2976
	global_load_dwordx4 v[117:120], v[16:17], off offset:16
	s_waitcnt vmcnt(1) lgkmcnt(10)
	v_mul_f64 v[16:17], v[42:43], v[107:108]
	v_fma_f64 v[72:73], v[40:41], v[105:106], -v[16:17]
	v_mul_f64 v[16:17], v[40:41], v[107:108]
	v_fma_f64 v[40:41], v[42:43], v[105:106], v[16:17]
	s_waitcnt vmcnt(0) lgkmcnt(9)
	v_mul_f64 v[16:17], v[46:47], v[119:120]
	v_fma_f64 v[42:43], v[44:45], v[117:118], -v[16:17]
	v_mul_f64 v[16:17], v[44:45], v[119:120]
	v_add_f64 v[26:27], v[72:73], v[42:43]
	v_fma_f64 v[44:45], v[46:47], v[117:118], v[16:17]
	v_lshlrev_b32_e32 v16, 5, v78
	v_add_co_u32_e32 v18, vcc, s10, v16
	v_addc_co_u32_e32 v19, vcc, 0, v20, vcc
	v_add_co_u32_e32 v16, vcc, s11, v18
	v_addc_co_u32_e32 v17, vcc, 0, v19, vcc
	;; [unrolled: 2-line block ×3, first 2 shown]
	global_load_dwordx4 v[97:100], v[18:19], off offset:2976
	global_load_dwordx4 v[101:104], v[16:17], off offset:16
	v_fma_f64 v[26:27], v[26:27], -0.5, v[36:37]
	s_waitcnt vmcnt(1) lgkmcnt(7)
	v_mul_f64 v[16:17], v[50:51], v[99:100]
	v_fma_f64 v[46:47], v[48:49], v[97:98], -v[16:17]
	v_mul_f64 v[16:17], v[48:49], v[99:100]
	v_fma_f64 v[48:49], v[50:51], v[97:98], v[16:17]
	s_waitcnt vmcnt(0) lgkmcnt(6)
	v_mul_f64 v[16:17], v[54:55], v[103:104]
	v_fma_f64 v[50:51], v[52:53], v[101:102], -v[16:17]
	v_mul_f64 v[16:17], v[52:53], v[103:104]
	v_fma_f64 v[52:53], v[54:55], v[101:102], v[16:17]
	v_lshlrev_b32_e32 v16, 5, v35
	v_add_co_u32_e32 v18, vcc, s10, v16
	v_addc_co_u32_e32 v19, vcc, 0, v20, vcc
	v_add_co_u32_e32 v16, vcc, s11, v18
	v_addc_co_u32_e32 v17, vcc, 0, v19, vcc
	;; [unrolled: 2-line block ×3, first 2 shown]
	global_load_dwordx4 v[89:92], v[18:19], off offset:2976
	global_load_dwordx4 v[93:96], v[16:17], off offset:16
	s_waitcnt vmcnt(1) lgkmcnt(4)
	v_mul_f64 v[16:17], v[58:59], v[91:92]
	v_fma_f64 v[54:55], v[56:57], v[89:90], -v[16:17]
	v_mul_f64 v[16:17], v[56:57], v[91:92]
	v_fma_f64 v[56:57], v[58:59], v[89:90], v[16:17]
	s_waitcnt vmcnt(0) lgkmcnt(3)
	v_mul_f64 v[16:17], v[62:63], v[95:96]
	v_fma_f64 v[58:59], v[60:61], v[93:94], -v[16:17]
	v_mul_f64 v[16:17], v[60:61], v[95:96]
	v_fma_f64 v[60:61], v[62:63], v[93:94], v[16:17]
	v_lshlrev_b32_e32 v16, 5, v76
	v_add_co_u32_e32 v18, vcc, s10, v16
	v_addc_co_u32_e32 v19, vcc, 0, v20, vcc
	v_add_co_u32_e32 v16, vcc, s11, v18
	v_addc_co_u32_e32 v17, vcc, 0, v19, vcc
	;; [unrolled: 2-line block ×3, first 2 shown]
	global_load_dwordx4 v[81:84], v[18:19], off offset:2976
	global_load_dwordx4 v[85:88], v[16:17], off offset:16
	v_add_f64 v[18:19], v[29:30], v[31:32]
	v_add_f64 v[20:21], v[22:23], -v[24:25]
	s_mov_b32 s10, 0xe3d0
	v_fma_f64 v[18:19], v[18:19], -0.5, v[12:13]
	s_waitcnt vmcnt(1) lgkmcnt(1)
	v_mul_f64 v[16:17], v[66:67], v[83:84]
	v_fma_f64 v[62:63], v[64:65], v[81:82], -v[16:17]
	v_mul_f64 v[16:17], v[64:65], v[83:84]
	v_fma_f64 v[64:65], v[66:67], v[81:82], v[16:17]
	s_waitcnt vmcnt(0) lgkmcnt(0)
	v_mul_f64 v[16:17], v[70:71], v[87:88]
	v_fma_f64 v[66:67], v[68:69], v[85:86], -v[16:17]
	v_mul_f64 v[16:17], v[68:69], v[87:88]
	v_fma_f64 v[68:69], v[70:71], v[85:86], v[16:17]
	v_add_f64 v[16:17], v[12:13], v[29:30]
	v_fma_f64 v[12:13], v[20:21], s[4:5], v[18:19]
	v_fma_f64 v[20:21], v[20:21], s[2:3], v[18:19]
	v_add_f64 v[18:19], v[14:15], v[22:23]
	v_add_f64 v[22:23], v[22:23], v[24:25]
	;; [unrolled: 1-line block ×4, first 2 shown]
	v_fma_f64 v[22:23], v[22:23], -0.5, v[14:15]
	v_add_f64 v[24:25], v[29:30], -v[31:32]
	v_add_f64 v[30:31], v[40:41], -v[44:45]
	v_fma_f64 v[14:15], v[24:25], s[2:3], v[22:23]
	v_fma_f64 v[22:23], v[24:25], s[4:5], v[22:23]
	v_add_f64 v[24:25], v[36:37], v[72:73]
	v_fma_f64 v[28:29], v[30:31], s[4:5], v[26:27]
	v_fma_f64 v[35:36], v[30:31], s[2:3], v[26:27]
	v_add_f64 v[30:31], v[40:41], v[44:45]
	v_add_f64 v[26:27], v[38:39], v[40:41]
	;; [unrolled: 1-line block ×3, first 2 shown]
	v_fma_f64 v[37:38], v[30:31], -0.5, v[38:39]
	v_add_f64 v[39:40], v[72:73], -v[42:43]
	v_add_f64 v[41:42], v[46:47], v[50:51]
	v_add_f64 v[26:27], v[26:27], v[44:45]
	v_add_f64 v[43:44], v[48:49], -v[52:53]
	v_fma_f64 v[30:31], v[39:40], s[2:3], v[37:38]
	v_fma_f64 v[41:42], v[41:42], -0.5, v[8:9]
	v_fma_f64 v[37:38], v[39:40], s[4:5], v[37:38]
	v_add_f64 v[39:40], v[8:9], v[46:47]
	v_add_f64 v[45:46], v[46:47], -v[50:51]
	v_fma_f64 v[8:9], v[43:44], s[4:5], v[41:42]
	v_fma_f64 v[43:44], v[43:44], s[2:3], v[41:42]
	v_add_f64 v[41:42], v[10:11], v[48:49]
	v_add_f64 v[48:49], v[48:49], v[52:53]
	;; [unrolled: 1-line block ×4, first 2 shown]
	v_fma_f64 v[48:49], v[48:49], -0.5, v[10:11]
	v_add_f64 v[51:52], v[56:57], -v[60:61]
	v_fma_f64 v[10:11], v[45:46], s[2:3], v[48:49]
	v_fma_f64 v[45:46], v[45:46], s[4:5], v[48:49]
	v_add_f64 v[49:50], v[54:55], v[58:59]
	v_add_f64 v[47:48], v[4:5], v[54:55]
	v_add_f64 v[53:54], v[54:55], -v[58:59]
	v_fma_f64 v[49:50], v[49:50], -0.5, v[4:5]
	v_add_f64 v[47:48], v[47:48], v[58:59]
	v_fma_f64 v[4:5], v[51:52], s[4:5], v[49:50]
	v_fma_f64 v[51:52], v[51:52], s[2:3], v[49:50]
	v_add_f64 v[49:50], v[6:7], v[56:57]
	v_add_f64 v[56:57], v[56:57], v[60:61]
	;; [unrolled: 1-line block ×3, first 2 shown]
	v_fma_f64 v[56:57], v[56:57], -0.5, v[6:7]
	v_add_f64 v[59:60], v[64:65], -v[68:69]
	v_fma_f64 v[6:7], v[53:54], s[2:3], v[56:57]
	v_fma_f64 v[53:54], v[53:54], s[4:5], v[56:57]
	v_add_f64 v[57:58], v[62:63], v[66:67]
	v_add_f64 v[55:56], v[0:1], v[62:63]
	v_add_f64 v[61:62], v[62:63], -v[66:67]
	v_fma_f64 v[57:58], v[57:58], -0.5, v[0:1]
	v_add_f64 v[55:56], v[55:56], v[66:67]
	v_fma_f64 v[0:1], v[59:60], s[4:5], v[57:58]
	v_fma_f64 v[59:60], v[59:60], s[2:3], v[57:58]
	v_add_f64 v[57:58], v[2:3], v[64:65]
	v_add_f64 v[64:65], v[64:65], v[68:69]
	;; [unrolled: 1-line block ×3, first 2 shown]
	v_fma_f64 v[64:65], v[64:65], -0.5, v[2:3]
	v_fma_f64 v[2:3], v[61:62], s[2:3], v[64:65]
	v_fma_f64 v[61:62], v[61:62], s[4:5], v[64:65]
	ds_write_b128 v125, v[16:19]
	ds_write_b128 v125, v[12:15] offset:19440
	ds_write_b128 v125, v[20:23] offset:38880
	;; [unrolled: 1-line block ×14, first 2 shown]
	v_add_co_u32_e32 v12, vcc, s10, v33
	v_addc_co_u32_e32 v13, vcc, 0, v34, vcc
	s_mov_b32 s10, 0xe000
	v_add_co_u32_e32 v4, vcc, s10, v33
	v_addc_co_u32_e32 v5, vcc, 0, v34, vcc
	s_waitcnt lgkmcnt(0)
	s_barrier
	global_load_dwordx4 v[4:7], v[4:5], off offset:976
	ds_read_b128 v[0:3], v125
	s_mov_b32 s10, 0x11000
	s_waitcnt vmcnt(0) lgkmcnt(0)
	v_mul_f64 v[8:9], v[2:3], v[6:7]
	v_fma_f64 v[8:9], v[0:1], v[4:5], -v[8:9]
	v_mul_f64 v[0:1], v[0:1], v[6:7]
	v_fma_f64 v[10:11], v[2:3], v[4:5], v[0:1]
	v_add_co_u32_e32 v4, vcc, s10, v33
	v_addc_co_u32_e32 v5, vcc, 0, v34, vcc
	global_load_dwordx4 v[4:7], v[4:5], off offset:352
	ds_read_b128 v[0:3], v125 offset:11664
	s_mov_b32 s10, 0x13000
	ds_write_b128 v125, v[8:11]
	s_waitcnt vmcnt(0) lgkmcnt(1)
	v_mul_f64 v[8:9], v[2:3], v[6:7]
	v_fma_f64 v[8:9], v[0:1], v[4:5], -v[8:9]
	v_mul_f64 v[0:1], v[0:1], v[6:7]
	v_fma_f64 v[10:11], v[2:3], v[4:5], v[0:1]
	v_add_co_u32_e32 v4, vcc, s10, v33
	v_addc_co_u32_e32 v5, vcc, 0, v34, vcc
	global_load_dwordx4 v[4:7], v[4:5], off offset:3824
	ds_read_b128 v[0:3], v125 offset:23328
	s_mov_b32 s10, 0x16000
	ds_write_b128 v125, v[8:11] offset:11664
	s_waitcnt vmcnt(0) lgkmcnt(1)
	v_mul_f64 v[8:9], v[2:3], v[6:7]
	v_fma_f64 v[8:9], v[0:1], v[4:5], -v[8:9]
	v_mul_f64 v[0:1], v[0:1], v[6:7]
	v_fma_f64 v[10:11], v[2:3], v[4:5], v[0:1]
	v_add_co_u32_e32 v4, vcc, s10, v33
	v_addc_co_u32_e32 v5, vcc, 0, v34, vcc
	global_load_dwordx4 v[4:7], v[4:5], off offset:3200
	ds_read_b128 v[0:3], v125 offset:34992
	s_mov_b32 s10, 0x19000
	ds_write_b128 v125, v[8:11] offset:23328
	;; [unrolled: 11-line block ×3, first 2 shown]
	s_waitcnt vmcnt(0) lgkmcnt(1)
	v_mul_f64 v[8:9], v[2:3], v[6:7]
	v_fma_f64 v[8:9], v[0:1], v[4:5], -v[8:9]
	v_mul_f64 v[0:1], v[0:1], v[6:7]
	v_fma_f64 v[10:11], v[2:3], v[4:5], v[0:1]
	global_load_dwordx4 v[4:7], v[12:13], off offset:3888
	ds_read_b128 v[0:3], v125 offset:3888
	v_add_co_u32_e32 v12, vcc, s10, v33
	v_addc_co_u32_e32 v13, vcc, 0, v34, vcc
	s_mov_b32 s10, 0x14000
	ds_write_b128 v125, v[8:11] offset:46656
	s_waitcnt vmcnt(0) lgkmcnt(1)
	v_mul_f64 v[8:9], v[2:3], v[6:7]
	v_fma_f64 v[8:9], v[0:1], v[4:5], -v[8:9]
	v_mul_f64 v[0:1], v[0:1], v[6:7]
	v_fma_f64 v[10:11], v[2:3], v[4:5], v[0:1]
	global_load_dwordx4 v[4:7], v[12:13], off offset:144
	ds_read_b128 v[0:3], v125 offset:15552
	ds_write_b128 v125, v[8:11] offset:3888
	s_waitcnt vmcnt(0) lgkmcnt(1)
	v_mul_f64 v[8:9], v[2:3], v[6:7]
	v_fma_f64 v[8:9], v[0:1], v[4:5], -v[8:9]
	v_mul_f64 v[0:1], v[0:1], v[6:7]
	v_fma_f64 v[10:11], v[2:3], v[4:5], v[0:1]
	v_add_co_u32_e32 v4, vcc, s10, v33
	v_addc_co_u32_e32 v5, vcc, 0, v34, vcc
	global_load_dwordx4 v[4:7], v[4:5], off offset:3616
	ds_read_b128 v[0:3], v125 offset:27216
	s_mov_b32 s10, 0x17000
	ds_write_b128 v125, v[8:11] offset:15552
	s_waitcnt vmcnt(0) lgkmcnt(1)
	v_mul_f64 v[8:9], v[2:3], v[6:7]
	v_fma_f64 v[8:9], v[0:1], v[4:5], -v[8:9]
	v_mul_f64 v[0:1], v[0:1], v[6:7]
	v_fma_f64 v[10:11], v[2:3], v[4:5], v[0:1]
	v_add_co_u32_e32 v4, vcc, s10, v33
	v_addc_co_u32_e32 v5, vcc, 0, v34, vcc
	global_load_dwordx4 v[4:7], v[4:5], off offset:2992
	ds_read_b128 v[0:3], v125 offset:38880
	s_mov_b32 s10, 0x1a000
	;; [unrolled: 11-line block ×4, first 2 shown]
	ds_write_b128 v125, v[8:11] offset:50544
	s_waitcnt vmcnt(0) lgkmcnt(1)
	v_mul_f64 v[8:9], v[2:3], v[6:7]
	v_fma_f64 v[8:9], v[0:1], v[4:5], -v[8:9]
	v_mul_f64 v[0:1], v[0:1], v[6:7]
	v_fma_f64 v[10:11], v[2:3], v[4:5], v[0:1]
	global_load_dwordx4 v[4:7], v[12:13], off offset:4032
	ds_read_b128 v[0:3], v125 offset:19440
	ds_write_b128 v125, v[8:11] offset:7776
	s_waitcnt vmcnt(0) lgkmcnt(1)
	v_mul_f64 v[8:9], v[2:3], v[6:7]
	v_fma_f64 v[8:9], v[0:1], v[4:5], -v[8:9]
	v_mul_f64 v[0:1], v[0:1], v[6:7]
	v_fma_f64 v[10:11], v[2:3], v[4:5], v[0:1]
	v_add_co_u32_e32 v4, vcc, s10, v33
	v_addc_co_u32_e32 v5, vcc, 0, v34, vcc
	global_load_dwordx4 v[4:7], v[4:5], off offset:3408
	ds_read_b128 v[0:3], v125 offset:31104
	s_mov_b32 s10, 0x18000
	ds_write_b128 v125, v[8:11] offset:19440
	s_waitcnt vmcnt(0) lgkmcnt(1)
	v_mul_f64 v[8:9], v[2:3], v[6:7]
	v_fma_f64 v[8:9], v[0:1], v[4:5], -v[8:9]
	v_mul_f64 v[0:1], v[0:1], v[6:7]
	v_fma_f64 v[10:11], v[2:3], v[4:5], v[0:1]
	v_add_co_u32_e32 v4, vcc, s10, v33
	v_addc_co_u32_e32 v5, vcc, 0, v34, vcc
	global_load_dwordx4 v[4:7], v[4:5], off offset:2784
	ds_read_b128 v[0:3], v125 offset:42768
	s_mov_b32 s10, 0x1b000
	ds_write_b128 v125, v[8:11] offset:31104
	s_waitcnt vmcnt(0) lgkmcnt(1)
	v_mul_f64 v[8:9], v[2:3], v[6:7]
	v_fma_f64 v[8:9], v[0:1], v[4:5], -v[8:9]
	v_mul_f64 v[0:1], v[0:1], v[6:7]
	v_fma_f64 v[10:11], v[2:3], v[4:5], v[0:1]
	v_add_co_u32_e32 v4, vcc, s10, v33
	v_addc_co_u32_e32 v5, vcc, 0, v34, vcc
	global_load_dwordx4 v[4:7], v[4:5], off offset:2160
	ds_read_b128 v[0:3], v125 offset:54432
	ds_write_b128 v125, v[8:11] offset:42768
	s_waitcnt vmcnt(0) lgkmcnt(1)
	v_mul_f64 v[8:9], v[2:3], v[6:7]
	v_fma_f64 v[8:9], v[0:1], v[4:5], -v[8:9]
	v_mul_f64 v[0:1], v[0:1], v[6:7]
	v_fma_f64 v[10:11], v[2:3], v[4:5], v[0:1]
	ds_write_b128 v125, v[8:11] offset:54432
	s_waitcnt lgkmcnt(0)
	s_barrier
	ds_read_b128 v[37:40], v125
	ds_read_b128 v[41:44], v125 offset:11664
	ds_read_b128 v[45:48], v125 offset:23328
	;; [unrolled: 1-line block ×14, first 2 shown]
	s_waitcnt lgkmcnt(13)
	v_add_f64 v[61:62], v[37:38], v[41:42]
	s_waitcnt lgkmcnt(10)
	v_add_f64 v[63:64], v[43:44], -v[55:56]
	v_add_f64 v[67:68], v[47:48], -v[51:52]
	;; [unrolled: 1-line block ×4, first 2 shown]
	s_waitcnt lgkmcnt(0)
	s_barrier
	v_add_f64 v[61:62], v[61:62], v[45:46]
	v_add_f64 v[71:72], v[69:70], v[71:72]
	;; [unrolled: 1-line block ×5, first 2 shown]
	v_fma_f64 v[61:62], v[61:62], -0.5, v[37:38]
	v_fma_f64 v[65:66], v[63:64], s[18:19], v[61:62]
	v_fma_f64 v[61:62], v[63:64], s[6:7], v[61:62]
	;; [unrolled: 1-line block ×6, first 2 shown]
	v_add_f64 v[61:62], v[41:42], v[53:54]
	v_add_f64 v[65:66], v[45:46], -v[41:42]
	v_add_f64 v[71:72], v[49:50], -v[53:54]
	;; [unrolled: 1-line block ×4, first 2 shown]
	v_fma_f64 v[36:37], v[61:62], -0.5, v[37:38]
	v_add_f64 v[65:66], v[65:66], v[71:72]
	v_fma_f64 v[61:62], v[67:68], s[6:7], v[36:37]
	v_fma_f64 v[36:37], v[67:68], s[18:19], v[36:37]
	;; [unrolled: 1-line block ×4, first 2 shown]
	v_add_f64 v[63:64], v[55:56], -v[51:52]
	v_fma_f64 v[61:62], v[65:66], s[8:9], v[61:62]
	v_fma_f64 v[65:66], v[65:66], s[8:9], v[36:37]
	v_add_f64 v[36:37], v[39:40], v[43:44]
	v_add_f64 v[36:37], v[36:37], v[47:48]
	;; [unrolled: 1-line block ×5, first 2 shown]
	v_fma_f64 v[36:37], v[36:37], -0.5, v[39:40]
	v_fma_f64 v[53:54], v[41:42], s[6:7], v[36:37]
	v_fma_f64 v[36:37], v[41:42], s[18:19], v[36:37]
	;; [unrolled: 1-line block ×3, first 2 shown]
	v_add_f64 v[53:54], v[43:44], -v[47:48]
	v_fma_f64 v[36:37], v[45:46], s[14:15], v[36:37]
	v_add_f64 v[53:54], v[53:54], v[63:64]
	v_fma_f64 v[79:80], v[53:54], s[8:9], v[36:37]
	v_add_f64 v[36:37], v[43:44], v[55:56]
	v_add_f64 v[43:44], v[47:48], -v[43:44]
	v_add_f64 v[47:48], v[51:52], -v[55:56]
	v_fma_f64 v[71:72], v[53:54], s[8:9], v[49:50]
	v_fma_f64 v[36:37], v[36:37], -0.5, v[39:40]
	v_add_f64 v[43:44], v[43:44], v[47:48]
	v_add_f64 v[47:48], v[8:9], -v[12:13]
	v_fma_f64 v[38:39], v[45:46], s[18:19], v[36:37]
	v_fma_f64 v[36:37], v[45:46], s[6:7], v[36:37]
	v_add_f64 v[45:46], v[4:5], -v[0:1]
	v_fma_f64 v[38:39], v[41:42], s[16:17], v[38:39]
	v_fma_f64 v[36:37], v[41:42], s[14:15], v[36:37]
	v_add_f64 v[47:48], v[45:46], v[47:48]
	v_fma_f64 v[63:64], v[43:44], s[8:9], v[38:39]
	v_fma_f64 v[67:68], v[43:44], s[8:9], v[36:37]
	v_add_f64 v[36:37], v[32:33], v[4:5]
	v_add_f64 v[39:40], v[6:7], -v[10:11]
	v_add_f64 v[43:44], v[2:3], -v[14:15]
	v_add_f64 v[36:37], v[36:37], v[0:1]
	v_add_f64 v[36:37], v[36:37], v[12:13]
	;; [unrolled: 1-line block ×4, first 2 shown]
	v_fma_f64 v[36:37], v[36:37], -0.5, v[32:33]
	v_fma_f64 v[41:42], v[39:40], s[18:19], v[36:37]
	v_fma_f64 v[36:37], v[39:40], s[6:7], v[36:37]
	;; [unrolled: 1-line block ×6, first 2 shown]
	v_add_f64 v[36:37], v[4:5], v[8:9]
	v_add_f64 v[41:42], v[0:1], -v[4:5]
	v_add_f64 v[47:48], v[12:13], -v[8:9]
	;; [unrolled: 1-line block ×5, first 2 shown]
	v_fma_f64 v[32:33], v[36:37], -0.5, v[32:33]
	v_add_f64 v[41:42], v[41:42], v[47:48]
	v_fma_f64 v[36:37], v[43:44], s[6:7], v[32:33]
	v_fma_f64 v[32:33], v[43:44], s[18:19], v[32:33]
	;; [unrolled: 1-line block ×4, first 2 shown]
	v_add_f64 v[39:40], v[10:11], -v[14:15]
	v_fma_f64 v[37:38], v[41:42], s[8:9], v[36:37]
	v_fma_f64 v[41:42], v[41:42], s[8:9], v[32:33]
	v_add_f64 v[32:33], v[34:35], v[6:7]
	v_add_f64 v[12:13], v[12:13], v[39:40]
	;; [unrolled: 1-line block ×6, first 2 shown]
	v_add_f64 v[2:3], v[2:3], -v[6:7]
	v_fma_f64 v[32:33], v[32:33], -0.5, v[34:35]
	v_fma_f64 v[8:9], v[4:5], s[6:7], v[32:33]
	v_fma_f64 v[8:9], v[0:1], s[16:17], v[8:9]
	;; [unrolled: 1-line block ×4, first 2 shown]
	v_add_f64 v[32:33], v[28:29], -v[24:25]
	v_fma_f64 v[8:9], v[0:1], s[14:15], v[8:9]
	v_fma_f64 v[55:56], v[12:13], s[8:9], v[8:9]
	v_add_f64 v[8:9], v[6:7], v[10:11]
	v_add_f64 v[6:7], v[14:15], -v[10:11]
	v_add_f64 v[10:11], v[18:19], -v[30:31]
	;; [unrolled: 1-line block ×3, first 2 shown]
	v_fma_f64 v[8:9], v[8:9], -0.5, v[34:35]
	v_add_f64 v[2:3], v[2:3], v[6:7]
	v_add_f64 v[6:7], v[22:23], -v[26:27]
	v_add_f64 v[14:15], v[14:15], v[32:33]
	v_fma_f64 v[12:13], v[0:1], s[18:19], v[8:9]
	v_fma_f64 v[0:1], v[0:1], s[6:7], v[8:9]
	v_add_f64 v[8:9], v[20:21], -v[16:17]
	v_fma_f64 v[12:13], v[4:5], s[16:17], v[12:13]
	v_fma_f64 v[0:1], v[4:5], s[14:15], v[0:1]
	;; [unrolled: 1-line block ×4, first 2 shown]
	v_add_f64 v[2:3], v[16:17], v[28:29]
	v_add_f64 v[12:13], v[24:25], -v[28:29]
	v_add_f64 v[0:1], v[57:58], v[20:21]
	v_fma_f64 v[2:3], v[2:3], -0.5, v[57:58]
	v_add_f64 v[8:9], v[8:9], v[12:13]
	v_add_f64 v[0:1], v[0:1], v[16:17]
	v_add_f64 v[16:17], v[16:17], -v[28:29]
	v_fma_f64 v[4:5], v[6:7], s[18:19], v[2:3]
	v_fma_f64 v[2:3], v[6:7], s[6:7], v[2:3]
	v_add_f64 v[0:1], v[0:1], v[28:29]
	v_fma_f64 v[4:5], v[10:11], s[14:15], v[4:5]
	v_fma_f64 v[2:3], v[10:11], s[16:17], v[2:3]
	v_add_f64 v[0:1], v[0:1], v[24:25]
	;; [unrolled: 3-line block ×3, first 2 shown]
	v_add_f64 v[20:21], v[20:21], -v[24:25]
	v_add_f64 v[24:25], v[26:27], -v[30:31]
	v_fma_f64 v[2:3], v[2:3], -0.5, v[57:58]
	v_fma_f64 v[12:13], v[10:11], s[6:7], v[2:3]
	v_fma_f64 v[2:3], v[10:11], s[18:19], v[2:3]
	;; [unrolled: 1-line block ×4, first 2 shown]
	v_add_f64 v[6:7], v[18:19], v[30:31]
	v_fma_f64 v[12:13], v[14:15], s[8:9], v[12:13]
	v_fma_f64 v[32:33], v[14:15], s[8:9], v[2:3]
	v_fma_f64 v[10:11], v[6:7], -0.5, v[59:60]
	v_add_f64 v[14:15], v[22:23], -v[18:19]
	v_add_f64 v[2:3], v[59:60], v[22:23]
	v_fma_f64 v[6:7], v[20:21], s[6:7], v[10:11]
	v_fma_f64 v[10:11], v[20:21], s[18:19], v[10:11]
	v_add_f64 v[14:15], v[14:15], v[24:25]
	v_add_f64 v[2:3], v[2:3], v[18:19]
	v_add_f64 v[18:19], v[18:19], -v[22:23]
	v_fma_f64 v[6:7], v[16:17], s[16:17], v[6:7]
	v_fma_f64 v[10:11], v[16:17], s[14:15], v[10:11]
	v_add_f64 v[2:3], v[2:3], v[30:31]
	v_fma_f64 v[6:7], v[14:15], s[8:9], v[6:7]
	v_fma_f64 v[10:11], v[14:15], s[8:9], v[10:11]
	v_add_f64 v[14:15], v[22:23], v[26:27]
	v_add_f64 v[22:23], v[30:31], -v[26:27]
	v_add_f64 v[2:3], v[2:3], v[26:27]
	v_fma_f64 v[24:25], v[14:15], -0.5, v[59:60]
	v_add_f64 v[18:19], v[18:19], v[22:23]
	v_fma_f64 v[14:15], v[16:17], s[18:19], v[24:25]
	v_fma_f64 v[16:17], v[16:17], s[6:7], v[24:25]
	v_fma_f64 v[14:15], v[20:21], s[16:17], v[14:15]
	v_fma_f64 v[16:17], v[20:21], s[14:15], v[16:17]
	v_fma_f64 v[14:15], v[18:19], s[8:9], v[14:15]
	v_fma_f64 v[34:35], v[18:19], s[8:9], v[16:17]
	buffer_load_dword v16, off, s[28:31], 0 offset:380 ; 4-byte Folded Reload
	s_waitcnt vmcnt(0)
	ds_write_b128 v16, v[73:76]
	ds_write_b128 v16, v[69:72] offset:16
	ds_write_b128 v16, v[61:64] offset:32
	;; [unrolled: 1-line block ×4, first 2 shown]
	ds_write_b128 v127, v[49:52]
	ds_write_b128 v127, v[45:48] offset:16
	ds_write_b128 v127, v[37:40] offset:32
	ds_write_b128 v127, v[41:44] offset:48
	ds_write_b128 v127, v[53:56] offset:64
	buffer_load_dword v16, off, s[28:31], 0 offset:280 ; 4-byte Folded Reload
	s_waitcnt vmcnt(0)
	ds_write_b128 v16, v[0:3]
	ds_write_b128 v16, v[4:7] offset:16
	ds_write_b128 v16, v[12:15] offset:32
	;; [unrolled: 1-line block ×4, first 2 shown]
	s_waitcnt lgkmcnt(0)
	s_barrier
	ds_read_b128 v[0:3], v125
	ds_read_b128 v[4:7], v125 offset:19440
	ds_read_b128 v[8:11], v125 offset:38880
	;; [unrolled: 1-line block ×14, first 2 shown]
	buffer_load_dword v62, off, s[28:31], 0 offset:264 ; 4-byte Folded Reload
	buffer_load_dword v63, off, s[28:31], 0 offset:268 ; 4-byte Folded Reload
	;; [unrolled: 1-line block ×8, first 2 shown]
	s_waitcnt vmcnt(4) lgkmcnt(13)
	v_mul_f64 v[60:61], v[64:65], v[6:7]
	v_fma_f64 v[60:61], v[62:63], v[4:5], v[60:61]
	v_mul_f64 v[4:5], v[64:65], v[4:5]
	v_fma_f64 v[62:63], v[62:63], v[6:7], -v[4:5]
	s_waitcnt vmcnt(0) lgkmcnt(12)
	v_mul_f64 v[4:5], v[68:69], v[10:11]
	v_fma_f64 v[64:65], v[66:67], v[8:9], v[4:5]
	v_mul_f64 v[4:5], v[68:69], v[8:9]
	buffer_load_dword v6, off, s[28:31], 0 offset:300 ; 4-byte Folded Reload
	buffer_load_dword v7, off, s[28:31], 0 offset:304 ; 4-byte Folded Reload
	;; [unrolled: 1-line block ×4, first 2 shown]
	v_fma_f64 v[10:11], v[66:67], v[10:11], -v[4:5]
	s_waitcnt vmcnt(0) lgkmcnt(10)
	v_mul_f64 v[4:5], v[8:9], v[18:19]
	v_fma_f64 v[66:67], v[6:7], v[16:17], v[4:5]
	v_mul_f64 v[4:5], v[8:9], v[16:17]
	v_add_f64 v[16:17], v[60:61], -v[64:65]
	v_fma_f64 v[68:69], v[6:7], v[18:19], -v[4:5]
	buffer_load_dword v6, off, s[28:31], 0 offset:284 ; 4-byte Folded Reload
	buffer_load_dword v7, off, s[28:31], 0 offset:288 ; 4-byte Folded Reload
	;; [unrolled: 1-line block ×4, first 2 shown]
	s_waitcnt vmcnt(0) lgkmcnt(9)
	v_mul_f64 v[4:5], v[8:9], v[22:23]
	v_fma_f64 v[70:71], v[6:7], v[20:21], v[4:5]
	v_mul_f64 v[4:5], v[8:9], v[20:21]
	v_add_f64 v[18:19], v[66:67], v[70:71]
	v_fma_f64 v[22:23], v[6:7], v[22:23], -v[4:5]
	buffer_load_dword v6, off, s[28:31], 0 offset:332 ; 4-byte Folded Reload
	buffer_load_dword v7, off, s[28:31], 0 offset:336 ; 4-byte Folded Reload
	;; [unrolled: 1-line block ×4, first 2 shown]
	v_fma_f64 v[18:19], v[18:19], -0.5, v[12:13]
	v_add_f64 v[20:21], v[68:69], -v[22:23]
	s_waitcnt vmcnt(0) lgkmcnt(7)
	v_mul_f64 v[4:5], v[8:9], v[30:31]
	v_fma_f64 v[72:73], v[6:7], v[28:29], v[4:5]
	v_mul_f64 v[4:5], v[8:9], v[28:29]
	v_add_f64 v[28:29], v[66:67], -v[70:71]
	v_fma_f64 v[74:75], v[6:7], v[30:31], -v[4:5]
	buffer_load_dword v6, off, s[28:31], 0 offset:316 ; 4-byte Folded Reload
	buffer_load_dword v7, off, s[28:31], 0 offset:320 ; 4-byte Folded Reload
	;; [unrolled: 1-line block ×4, first 2 shown]
	s_waitcnt vmcnt(0) lgkmcnt(6)
	v_mul_f64 v[4:5], v[8:9], v[34:35]
	v_fma_f64 v[76:77], v[6:7], v[32:33], v[4:5]
	v_mul_f64 v[4:5], v[8:9], v[32:33]
	v_add_f64 v[30:31], v[72:73], v[76:77]
	v_fma_f64 v[34:35], v[6:7], v[34:35], -v[4:5]
	buffer_load_dword v6, off, s[28:31], 0 offset:364 ; 4-byte Folded Reload
	buffer_load_dword v7, off, s[28:31], 0 offset:368 ; 4-byte Folded Reload
	;; [unrolled: 1-line block ×4, first 2 shown]
	v_fma_f64 v[30:31], v[30:31], -0.5, v[24:25]
	v_add_f64 v[32:33], v[74:75], -v[34:35]
	s_waitcnt vmcnt(0) lgkmcnt(4)
	v_mul_f64 v[4:5], v[8:9], v[42:43]
	v_fma_f64 v[78:79], v[6:7], v[40:41], v[4:5]
	v_mul_f64 v[4:5], v[8:9], v[40:41]
	v_fma_f64 v[40:41], v[6:7], v[42:43], -v[4:5]
	buffer_load_dword v6, off, s[28:31], 0 offset:348 ; 4-byte Folded Reload
	buffer_load_dword v7, off, s[28:31], 0 offset:352 ; 4-byte Folded Reload
	buffer_load_dword v8, off, s[28:31], 0 offset:356 ; 4-byte Folded Reload
	buffer_load_dword v9, off, s[28:31], 0 offset:360 ; 4-byte Folded Reload
	s_waitcnt vmcnt(0) lgkmcnt(3)
	v_mul_f64 v[4:5], v[8:9], v[46:47]
	v_fma_f64 v[42:43], v[6:7], v[44:45], v[4:5]
	v_mul_f64 v[4:5], v[8:9], v[44:45]
	v_fma_f64 v[46:47], v[6:7], v[46:47], -v[4:5]
	buffer_load_dword v6, off, s[28:31], 0 offset:400 ; 4-byte Folded Reload
	buffer_load_dword v7, off, s[28:31], 0 offset:404 ; 4-byte Folded Reload
	buffer_load_dword v8, off, s[28:31], 0 offset:408 ; 4-byte Folded Reload
	buffer_load_dword v9, off, s[28:31], 0 offset:412 ; 4-byte Folded Reload
	;; [unrolled: 9-line block ×3, first 2 shown]
	s_waitcnt vmcnt(0) lgkmcnt(0)
	s_barrier
	v_mul_f64 v[4:5], v[8:9], v[58:59]
	v_fma_f64 v[54:55], v[6:7], v[56:57], v[4:5]
	v_mul_f64 v[4:5], v[8:9], v[56:57]
	v_add_f64 v[8:9], v[62:63], -v[10:11]
	v_add_f64 v[56:57], v[72:73], -v[76:77]
	v_fma_f64 v[58:59], v[6:7], v[58:59], -v[4:5]
	v_add_f64 v[6:7], v[60:61], v[64:65]
	v_add_f64 v[4:5], v[0:1], v[60:61]
	v_fma_f64 v[6:7], v[6:7], -0.5, v[0:1]
	v_add_f64 v[4:5], v[4:5], v[64:65]
	v_fma_f64 v[0:1], v[8:9], s[2:3], v[6:7]
	v_fma_f64 v[8:9], v[8:9], s[4:5], v[6:7]
	v_add_f64 v[6:7], v[2:3], v[62:63]
	v_add_f64 v[6:7], v[6:7], v[10:11]
	;; [unrolled: 1-line block ×3, first 2 shown]
	v_add_f64 v[62:63], v[40:41], -v[46:47]
	v_fma_f64 v[10:11], v[10:11], -0.5, v[2:3]
	v_fma_f64 v[2:3], v[16:17], s[4:5], v[10:11]
	v_fma_f64 v[10:11], v[16:17], s[2:3], v[10:11]
	v_add_f64 v[16:17], v[12:13], v[66:67]
	v_fma_f64 v[12:13], v[20:21], s[2:3], v[18:19]
	v_fma_f64 v[20:21], v[20:21], s[4:5], v[18:19]
	v_add_f64 v[18:19], v[14:15], v[68:69]
	v_add_f64 v[16:17], v[16:17], v[70:71]
	;; [unrolled: 1-line block ×4, first 2 shown]
	v_fma_f64 v[22:23], v[22:23], -0.5, v[14:15]
	v_fma_f64 v[14:15], v[28:29], s[4:5], v[22:23]
	v_fma_f64 v[22:23], v[28:29], s[2:3], v[22:23]
	v_add_f64 v[28:29], v[24:25], v[72:73]
	v_fma_f64 v[24:25], v[32:33], s[2:3], v[30:31]
	v_fma_f64 v[32:33], v[32:33], s[4:5], v[30:31]
	v_add_f64 v[30:31], v[26:27], v[74:75]
	v_add_f64 v[28:29], v[28:29], v[76:77]
	;; [unrolled: 1-line block ×4, first 2 shown]
	v_fma_f64 v[34:35], v[34:35], -0.5, v[26:27]
	v_fma_f64 v[26:27], v[56:57], s[4:5], v[34:35]
	v_fma_f64 v[34:35], v[56:57], s[2:3], v[34:35]
	v_add_f64 v[56:57], v[36:37], v[78:79]
	v_add_f64 v[60:61], v[56:57], v[42:43]
	;; [unrolled: 1-line block ×3, first 2 shown]
	v_add_f64 v[42:43], v[78:79], -v[42:43]
	v_fma_f64 v[56:57], v[56:57], -0.5, v[36:37]
	v_fma_f64 v[36:37], v[62:63], s[2:3], v[56:57]
	v_fma_f64 v[64:65], v[62:63], s[4:5], v[56:57]
	v_add_f64 v[56:57], v[38:39], v[40:41]
	v_add_f64 v[40:41], v[40:41], v[46:47]
	;; [unrolled: 1-line block ×3, first 2 shown]
	v_fma_f64 v[40:41], v[40:41], -0.5, v[38:39]
	v_add_f64 v[46:47], v[52:53], -v[58:59]
	v_fma_f64 v[38:39], v[42:43], s[4:5], v[40:41]
	v_fma_f64 v[66:67], v[42:43], s[2:3], v[40:41]
	v_add_f64 v[42:43], v[44:45], v[54:55]
	v_add_f64 v[40:41], v[48:49], v[44:45]
	v_add_f64 v[44:45], v[44:45], -v[54:55]
	v_fma_f64 v[42:43], v[42:43], -0.5, v[48:49]
	v_add_f64 v[40:41], v[40:41], v[54:55]
	v_fma_f64 v[48:49], v[46:47], s[2:3], v[42:43]
	v_fma_f64 v[56:57], v[46:47], s[4:5], v[42:43]
	v_add_f64 v[46:47], v[52:53], v[58:59]
	v_add_f64 v[42:43], v[50:51], v[52:53]
	v_fma_f64 v[46:47], v[46:47], -0.5, v[50:51]
	v_add_f64 v[42:43], v[42:43], v[58:59]
	v_fma_f64 v[50:51], v[44:45], s[4:5], v[46:47]
	v_fma_f64 v[58:59], v[44:45], s[2:3], v[46:47]
	buffer_load_dword v44, off, s[28:31], 0 offset:528 ; 4-byte Folded Reload
	s_waitcnt vmcnt(0)
	ds_write_b128 v44, v[4:7]
	ds_write_b128 v44, v[0:3] offset:80
	ds_write_b128 v44, v[8:11] offset:160
	buffer_load_dword v0, off, s[28:31], 0 offset:492 ; 4-byte Folded Reload
	s_waitcnt vmcnt(0)
	ds_write_b128 v0, v[16:19]
	ds_write_b128 v0, v[12:15] offset:80
	ds_write_b128 v0, v[20:23] offset:160
	buffer_load_dword v0, off, s[28:31], 0 offset:488 ; 4-byte Folded Reload
	s_waitcnt vmcnt(0)
	ds_write_b128 v0, v[28:31]
	ds_write_b128 v0, v[24:27] offset:80
	ds_write_b128 v0, v[32:35] offset:160
	buffer_load_dword v0, off, s[28:31], 0 offset:452 ; 4-byte Folded Reload
	s_waitcnt vmcnt(0)
	ds_write_b128 v0, v[60:63]
	ds_write_b128 v0, v[36:39] offset:80
	ds_write_b128 v0, v[64:67] offset:160
	buffer_load_dword v0, off, s[28:31], 0 offset:416 ; 4-byte Folded Reload
	s_waitcnt vmcnt(0)
	ds_write_b128 v0, v[40:43]
	ds_write_b128 v0, v[48:51] offset:80
	ds_write_b128 v0, v[56:59] offset:160
	s_waitcnt lgkmcnt(0)
	s_barrier
	ds_read_b128 v[0:3], v125
	ds_read_b128 v[4:7], v125 offset:19440
	ds_read_b128 v[8:11], v125 offset:38880
	;; [unrolled: 1-line block ×14, first 2 shown]
	buffer_load_dword v62, off, s[28:31], 0 offset:436 ; 4-byte Folded Reload
	buffer_load_dword v63, off, s[28:31], 0 offset:440 ; 4-byte Folded Reload
	;; [unrolled: 1-line block ×8, first 2 shown]
	s_waitcnt vmcnt(4) lgkmcnt(13)
	v_mul_f64 v[60:61], v[64:65], v[6:7]
	v_fma_f64 v[60:61], v[62:63], v[4:5], v[60:61]
	v_mul_f64 v[4:5], v[64:65], v[4:5]
	v_fma_f64 v[62:63], v[62:63], v[6:7], -v[4:5]
	s_waitcnt vmcnt(0) lgkmcnt(12)
	v_mul_f64 v[4:5], v[68:69], v[10:11]
	v_fma_f64 v[64:65], v[66:67], v[8:9], v[4:5]
	v_mul_f64 v[4:5], v[68:69], v[8:9]
	buffer_load_dword v6, off, s[28:31], 0 offset:472 ; 4-byte Folded Reload
	buffer_load_dword v7, off, s[28:31], 0 offset:476 ; 4-byte Folded Reload
	;; [unrolled: 1-line block ×4, first 2 shown]
	v_fma_f64 v[10:11], v[66:67], v[10:11], -v[4:5]
	s_waitcnt vmcnt(0) lgkmcnt(10)
	v_mul_f64 v[4:5], v[8:9], v[18:19]
	v_fma_f64 v[66:67], v[6:7], v[16:17], v[4:5]
	v_mul_f64 v[4:5], v[8:9], v[16:17]
	v_add_f64 v[16:17], v[60:61], -v[64:65]
	v_fma_f64 v[68:69], v[6:7], v[18:19], -v[4:5]
	buffer_load_dword v6, off, s[28:31], 0 offset:456 ; 4-byte Folded Reload
	buffer_load_dword v7, off, s[28:31], 0 offset:460 ; 4-byte Folded Reload
	;; [unrolled: 1-line block ×4, first 2 shown]
	s_waitcnt vmcnt(0) lgkmcnt(9)
	v_mul_f64 v[4:5], v[8:9], v[22:23]
	v_fma_f64 v[70:71], v[6:7], v[20:21], v[4:5]
	v_mul_f64 v[4:5], v[8:9], v[20:21]
	v_add_f64 v[18:19], v[66:67], v[70:71]
	v_fma_f64 v[22:23], v[6:7], v[22:23], -v[4:5]
	buffer_load_dword v6, off, s[28:31], 0 offset:512 ; 4-byte Folded Reload
	buffer_load_dword v7, off, s[28:31], 0 offset:516 ; 4-byte Folded Reload
	;; [unrolled: 1-line block ×4, first 2 shown]
	v_fma_f64 v[18:19], v[18:19], -0.5, v[12:13]
	v_add_f64 v[20:21], v[68:69], -v[22:23]
	s_waitcnt vmcnt(0) lgkmcnt(7)
	v_mul_f64 v[4:5], v[8:9], v[30:31]
	v_fma_f64 v[72:73], v[6:7], v[28:29], v[4:5]
	v_mul_f64 v[4:5], v[8:9], v[28:29]
	v_add_f64 v[28:29], v[66:67], -v[70:71]
	v_fma_f64 v[74:75], v[6:7], v[30:31], -v[4:5]
	buffer_load_dword v6, off, s[28:31], 0 offset:496 ; 4-byte Folded Reload
	buffer_load_dword v7, off, s[28:31], 0 offset:500 ; 4-byte Folded Reload
	;; [unrolled: 1-line block ×4, first 2 shown]
	s_waitcnt vmcnt(0) lgkmcnt(6)
	v_mul_f64 v[4:5], v[8:9], v[34:35]
	v_fma_f64 v[76:77], v[6:7], v[32:33], v[4:5]
	v_mul_f64 v[4:5], v[8:9], v[32:33]
	v_add_f64 v[30:31], v[72:73], v[76:77]
	v_fma_f64 v[34:35], v[6:7], v[34:35], -v[4:5]
	buffer_load_dword v6, off, s[28:31], 0 offset:532 ; 4-byte Folded Reload
	buffer_load_dword v7, off, s[28:31], 0 offset:536 ; 4-byte Folded Reload
	;; [unrolled: 1-line block ×4, first 2 shown]
	s_waitcnt lgkmcnt(4)
	v_mul_f64 v[4:5], v[130:131], v[42:43]
	s_waitcnt vmcnt(0) lgkmcnt(0)
	s_barrier
	v_fma_f64 v[30:31], v[30:31], -0.5, v[24:25]
	v_add_f64 v[32:33], v[74:75], -v[34:35]
	v_fma_f64 v[78:79], v[128:129], v[40:41], v[4:5]
	v_mul_f64 v[4:5], v[130:131], v[40:41]
	v_add_f64 v[40:41], v[72:73], -v[76:77]
	v_fma_f64 v[127:128], v[128:129], v[42:43], -v[4:5]
	v_mul_f64 v[4:5], v[8:9], v[46:47]
	v_fma_f64 v[129:130], v[6:7], v[44:45], v[4:5]
	v_mul_f64 v[4:5], v[8:9], v[44:45]
	v_add_f64 v[8:9], v[62:63], -v[10:11]
	v_add_f64 v[42:43], v[78:79], v[129:130]
	v_fma_f64 v[46:47], v[6:7], v[46:47], -v[4:5]
	v_mul_f64 v[4:5], v[138:139], v[54:55]
	v_add_f64 v[6:7], v[60:61], v[64:65]
	v_fma_f64 v[42:43], v[42:43], -0.5, v[36:37]
	v_fma_f64 v[44:45], v[136:137], v[52:53], v[4:5]
	v_mul_f64 v[4:5], v[138:139], v[52:53]
	v_fma_f64 v[6:7], v[6:7], -0.5, v[0:1]
	v_add_f64 v[52:53], v[127:128], -v[46:47]
	v_fma_f64 v[136:137], v[136:137], v[54:55], -v[4:5]
	v_mul_f64 v[4:5], v[134:135], v[58:59]
	v_fma_f64 v[138:139], v[132:133], v[56:57], v[4:5]
	v_mul_f64 v[4:5], v[134:135], v[56:57]
	v_fma_f64 v[58:59], v[132:133], v[58:59], -v[4:5]
	v_add_f64 v[4:5], v[0:1], v[60:61]
	v_fma_f64 v[0:1], v[8:9], s[2:3], v[6:7]
	v_fma_f64 v[8:9], v[8:9], s[4:5], v[6:7]
	v_add_f64 v[6:7], v[2:3], v[62:63]
	v_fma_f64 v[60:61], v[52:53], s[4:5], v[42:43]
	v_add_f64 v[54:55], v[136:137], -v[58:59]
	v_add_f64 v[4:5], v[4:5], v[64:65]
	v_add_f64 v[6:7], v[6:7], v[10:11]
	;; [unrolled: 1-line block ×3, first 2 shown]
	v_fma_f64 v[10:11], v[10:11], -0.5, v[2:3]
	v_fma_f64 v[2:3], v[16:17], s[4:5], v[10:11]
	v_fma_f64 v[10:11], v[16:17], s[2:3], v[10:11]
	v_add_f64 v[16:17], v[12:13], v[66:67]
	v_fma_f64 v[12:13], v[20:21], s[2:3], v[18:19]
	v_fma_f64 v[20:21], v[20:21], s[4:5], v[18:19]
	v_add_f64 v[18:19], v[14:15], v[68:69]
	v_add_f64 v[16:17], v[16:17], v[70:71]
	;; [unrolled: 1-line block ×4, first 2 shown]
	v_fma_f64 v[22:23], v[22:23], -0.5, v[14:15]
	v_fma_f64 v[14:15], v[28:29], s[4:5], v[22:23]
	v_fma_f64 v[22:23], v[28:29], s[2:3], v[22:23]
	v_add_f64 v[28:29], v[24:25], v[72:73]
	v_fma_f64 v[24:25], v[32:33], s[2:3], v[30:31]
	v_fma_f64 v[32:33], v[32:33], s[4:5], v[30:31]
	v_add_f64 v[30:31], v[26:27], v[74:75]
	v_add_f64 v[28:29], v[28:29], v[76:77]
	;; [unrolled: 1-line block ×4, first 2 shown]
	v_fma_f64 v[34:35], v[34:35], -0.5, v[26:27]
	v_fma_f64 v[26:27], v[40:41], s[4:5], v[34:35]
	v_fma_f64 v[34:35], v[40:41], s[2:3], v[34:35]
	v_add_f64 v[40:41], v[36:37], v[78:79]
	v_fma_f64 v[36:37], v[52:53], s[2:3], v[42:43]
	v_add_f64 v[42:43], v[38:39], v[127:128]
	v_add_f64 v[52:53], v[78:79], -v[129:130]
	v_add_f64 v[40:41], v[40:41], v[129:130]
	v_add_f64 v[42:43], v[42:43], v[46:47]
	;; [unrolled: 1-line block ×3, first 2 shown]
	v_fma_f64 v[46:47], v[46:47], -0.5, v[38:39]
	v_fma_f64 v[38:39], v[52:53], s[4:5], v[46:47]
	v_fma_f64 v[62:63], v[52:53], s[2:3], v[46:47]
	v_add_f64 v[46:47], v[48:49], v[44:45]
	v_add_f64 v[52:53], v[46:47], v[138:139]
	;; [unrolled: 1-line block ×3, first 2 shown]
	v_add_f64 v[44:45], v[44:45], -v[138:139]
	v_fma_f64 v[46:47], v[46:47], -0.5, v[48:49]
	v_fma_f64 v[48:49], v[54:55], s[2:3], v[46:47]
	v_fma_f64 v[56:57], v[54:55], s[4:5], v[46:47]
	v_add_f64 v[46:47], v[50:51], v[136:137]
	v_add_f64 v[54:55], v[46:47], v[58:59]
	;; [unrolled: 1-line block ×3, first 2 shown]
	v_fma_f64 v[46:47], v[46:47], -0.5, v[50:51]
	v_fma_f64 v[50:51], v[44:45], s[4:5], v[46:47]
	v_fma_f64 v[58:59], v[44:45], s[2:3], v[46:47]
	buffer_load_dword v44, off, s[28:31], 0 offset:564 ; 4-byte Folded Reload
	s_waitcnt vmcnt(0)
	ds_write_b128 v44, v[4:7]
	ds_write_b128 v44, v[0:3] offset:240
	ds_write_b128 v44, v[8:11] offset:480
	buffer_load_dword v0, off, s[28:31], 0 offset:560 ; 4-byte Folded Reload
	s_waitcnt vmcnt(0)
	ds_write_b128 v0, v[16:19]
	ds_write_b128 v0, v[12:15] offset:240
	ds_write_b128 v0, v[20:23] offset:480
	;; [unrolled: 5-line block ×5, first 2 shown]
	s_waitcnt lgkmcnt(0)
	s_barrier
	ds_read_b128 v[0:3], v125
	ds_read_b128 v[4:7], v125 offset:19440
	ds_read_b128 v[8:11], v125 offset:38880
	;; [unrolled: 1-line block ×14, first 2 shown]
	s_waitcnt lgkmcnt(13)
	v_mul_f64 v[60:61], v[146:147], v[6:7]
	s_waitcnt lgkmcnt(0)
	s_barrier
	v_fma_f64 v[60:61], v[144:145], v[4:5], v[60:61]
	v_mul_f64 v[4:5], v[146:147], v[4:5]
	v_fma_f64 v[62:63], v[144:145], v[6:7], -v[4:5]
	v_mul_f64 v[4:5], v[142:143], v[10:11]
	v_fma_f64 v[64:65], v[140:141], v[8:9], v[4:5]
	v_mul_f64 v[4:5], v[142:143], v[8:9]
	v_add_f64 v[6:7], v[60:61], v[64:65]
	v_fma_f64 v[10:11], v[140:141], v[10:11], -v[4:5]
	v_mul_f64 v[4:5], v[154:155], v[18:19]
	v_fma_f64 v[6:7], v[6:7], -0.5, v[0:1]
	v_add_f64 v[8:9], v[62:63], -v[10:11]
	v_fma_f64 v[66:67], v[152:153], v[16:17], v[4:5]
	v_mul_f64 v[4:5], v[154:155], v[16:17]
	v_add_f64 v[16:17], v[60:61], -v[64:65]
	v_fma_f64 v[68:69], v[152:153], v[18:19], -v[4:5]
	v_mul_f64 v[4:5], v[150:151], v[22:23]
	v_fma_f64 v[70:71], v[148:149], v[20:21], v[4:5]
	v_mul_f64 v[4:5], v[150:151], v[20:21]
	v_add_f64 v[18:19], v[66:67], v[70:71]
	v_fma_f64 v[22:23], v[148:149], v[22:23], -v[4:5]
	v_mul_f64 v[4:5], v[162:163], v[30:31]
	v_fma_f64 v[18:19], v[18:19], -0.5, v[12:13]
	v_add_f64 v[20:21], v[68:69], -v[22:23]
	v_fma_f64 v[72:73], v[160:161], v[28:29], v[4:5]
	v_mul_f64 v[4:5], v[162:163], v[28:29]
	v_add_f64 v[28:29], v[66:67], -v[70:71]
	;; [unrolled: 12-line block ×4, first 2 shown]
	v_fma_f64 v[133:134], v[180:181], v[54:55], -v[4:5]
	v_mul_f64 v[4:5], v[178:179], v[58:59]
	v_fma_f64 v[135:136], v[176:177], v[56:57], v[4:5]
	v_mul_f64 v[4:5], v[178:179], v[56:57]
	v_add_f64 v[54:55], v[131:132], v[135:136]
	v_fma_f64 v[58:59], v[176:177], v[58:59], -v[4:5]
	v_add_f64 v[4:5], v[0:1], v[60:61]
	v_fma_f64 v[0:1], v[8:9], s[2:3], v[6:7]
	v_fma_f64 v[8:9], v[8:9], s[4:5], v[6:7]
	v_add_f64 v[6:7], v[2:3], v[62:63]
	v_add_f64 v[60:61], v[131:132], -v[135:136]
	v_fma_f64 v[54:55], v[54:55], -0.5, v[48:49]
	v_add_f64 v[56:57], v[133:134], -v[58:59]
	v_add_f64 v[4:5], v[4:5], v[64:65]
	v_add_f64 v[6:7], v[6:7], v[10:11]
	v_add_f64 v[10:11], v[62:63], v[10:11]
	v_fma_f64 v[10:11], v[10:11], -0.5, v[2:3]
	v_fma_f64 v[2:3], v[16:17], s[4:5], v[10:11]
	v_fma_f64 v[10:11], v[16:17], s[2:3], v[10:11]
	v_add_f64 v[16:17], v[12:13], v[66:67]
	v_fma_f64 v[12:13], v[20:21], s[2:3], v[18:19]
	v_fma_f64 v[20:21], v[20:21], s[4:5], v[18:19]
	v_add_f64 v[18:19], v[14:15], v[68:69]
	v_add_f64 v[16:17], v[16:17], v[70:71]
	v_add_f64 v[18:19], v[18:19], v[22:23]
	v_add_f64 v[22:23], v[68:69], v[22:23]
	v_fma_f64 v[22:23], v[22:23], -0.5, v[14:15]
	v_fma_f64 v[14:15], v[28:29], s[4:5], v[22:23]
	v_fma_f64 v[22:23], v[28:29], s[2:3], v[22:23]
	v_add_f64 v[28:29], v[24:25], v[72:73]
	v_fma_f64 v[24:25], v[32:33], s[2:3], v[30:31]
	v_fma_f64 v[32:33], v[32:33], s[4:5], v[30:31]
	v_add_f64 v[30:31], v[26:27], v[74:75]
	;; [unrolled: 10-line block ×4, first 2 shown]
	v_add_f64 v[52:53], v[52:53], v[135:136]
	v_add_f64 v[54:55], v[54:55], v[58:59]
	;; [unrolled: 1-line block ×3, first 2 shown]
	v_fma_f64 v[58:59], v[58:59], -0.5, v[50:51]
	v_fma_f64 v[50:51], v[60:61], s[4:5], v[58:59]
	v_fma_f64 v[58:59], v[60:61], s[2:3], v[58:59]
	buffer_load_dword v60, off, s[28:31], 0 offset:584 ; 4-byte Folded Reload
	s_waitcnt vmcnt(0)
	ds_write_b128 v60, v[4:7]
	ds_write_b128 v60, v[0:3] offset:720
	ds_write_b128 v60, v[8:11] offset:1440
	buffer_load_dword v0, off, s[28:31], 0 offset:568 ; 4-byte Folded Reload
	s_waitcnt vmcnt(0)
	ds_write_b128 v0, v[16:19]
	ds_write_b128 v0, v[12:15] offset:720
	ds_write_b128 v0, v[20:23] offset:1440
	;; [unrolled: 5-line block ×5, first 2 shown]
	s_waitcnt lgkmcnt(0)
	s_barrier
	ds_read_b128 v[8:11], v125
	ds_read_b128 v[12:15], v125 offset:19440
	ds_read_b128 v[16:19], v125 offset:38880
	;; [unrolled: 1-line block ×14, first 2 shown]
	s_waitcnt lgkmcnt(13)
	v_mul_f64 v[60:61], v[186:187], v[14:15]
	s_waitcnt lgkmcnt(0)
	s_barrier
	v_fma_f64 v[60:61], v[184:185], v[12:13], v[60:61]
	v_mul_f64 v[12:13], v[186:187], v[12:13]
	v_fma_f64 v[62:63], v[184:185], v[14:15], -v[12:13]
	v_mul_f64 v[12:13], v[174:175], v[18:19]
	v_fma_f64 v[64:65], v[172:173], v[16:17], v[12:13]
	v_mul_f64 v[12:13], v[174:175], v[16:17]
	v_add_f64 v[14:15], v[60:61], v[64:65]
	v_fma_f64 v[18:19], v[172:173], v[18:19], -v[12:13]
	v_mul_f64 v[12:13], v[194:195], v[26:27]
	v_fma_f64 v[14:15], v[14:15], -0.5, v[8:9]
	v_add_f64 v[16:17], v[62:63], -v[18:19]
	v_fma_f64 v[66:67], v[192:193], v[24:25], v[12:13]
	v_mul_f64 v[12:13], v[194:195], v[24:25]
	v_add_f64 v[24:25], v[60:61], -v[64:65]
	v_fma_f64 v[68:69], v[192:193], v[26:27], -v[12:13]
	v_mul_f64 v[12:13], v[190:191], v[30:31]
	v_fma_f64 v[70:71], v[188:189], v[28:29], v[12:13]
	v_mul_f64 v[12:13], v[190:191], v[28:29]
	v_add_f64 v[26:27], v[66:67], v[70:71]
	v_fma_f64 v[30:31], v[188:189], v[30:31], -v[12:13]
	v_mul_f64 v[12:13], v[206:207], v[38:39]
	v_fma_f64 v[26:27], v[26:27], -0.5, v[20:21]
	v_add_f64 v[28:29], v[68:69], -v[30:31]
	v_fma_f64 v[72:73], v[204:205], v[36:37], v[12:13]
	v_mul_f64 v[12:13], v[206:207], v[36:37]
	v_add_f64 v[36:37], v[66:67], -v[70:71]
	;; [unrolled: 12-line block ×4, first 2 shown]
	v_fma_f64 v[133:134], v[224:225], v[54:55], -v[12:13]
	v_mul_f64 v[12:13], v[218:219], v[58:59]
	v_fma_f64 v[135:136], v[216:217], v[56:57], v[12:13]
	v_mul_f64 v[12:13], v[218:219], v[56:57]
	v_add_f64 v[54:55], v[131:132], v[135:136]
	v_fma_f64 v[58:59], v[216:217], v[58:59], -v[12:13]
	v_add_f64 v[12:13], v[8:9], v[60:61]
	v_fma_f64 v[8:9], v[16:17], s[2:3], v[14:15]
	v_fma_f64 v[16:17], v[16:17], s[4:5], v[14:15]
	v_add_f64 v[14:15], v[10:11], v[62:63]
	v_add_f64 v[60:61], v[131:132], -v[135:136]
	v_fma_f64 v[54:55], v[54:55], -0.5, v[0:1]
	v_add_f64 v[56:57], v[133:134], -v[58:59]
	v_add_f64 v[12:13], v[12:13], v[64:65]
	v_add_f64 v[14:15], v[14:15], v[18:19]
	v_add_f64 v[18:19], v[62:63], v[18:19]
	v_fma_f64 v[18:19], v[18:19], -0.5, v[10:11]
	v_fma_f64 v[10:11], v[24:25], s[4:5], v[18:19]
	v_fma_f64 v[18:19], v[24:25], s[2:3], v[18:19]
	v_add_f64 v[24:25], v[20:21], v[66:67]
	v_fma_f64 v[20:21], v[28:29], s[2:3], v[26:27]
	v_fma_f64 v[28:29], v[28:29], s[4:5], v[26:27]
	v_add_f64 v[26:27], v[22:23], v[68:69]
	v_add_f64 v[24:25], v[24:25], v[70:71]
	v_add_f64 v[26:27], v[26:27], v[30:31]
	v_add_f64 v[30:31], v[68:69], v[30:31]
	v_fma_f64 v[30:31], v[30:31], -0.5, v[22:23]
	v_fma_f64 v[22:23], v[36:37], s[4:5], v[30:31]
	v_fma_f64 v[30:31], v[36:37], s[2:3], v[30:31]
	v_add_f64 v[36:37], v[32:33], v[72:73]
	v_fma_f64 v[32:33], v[40:41], s[2:3], v[38:39]
	v_fma_f64 v[40:41], v[40:41], s[4:5], v[38:39]
	v_add_f64 v[38:39], v[34:35], v[74:75]
	;; [unrolled: 10-line block ×4, first 2 shown]
	v_add_f64 v[52:53], v[52:53], v[135:136]
	v_add_f64 v[54:55], v[54:55], v[58:59]
	;; [unrolled: 1-line block ×3, first 2 shown]
	v_fma_f64 v[58:59], v[58:59], -0.5, v[2:3]
	v_fma_f64 v[2:3], v[60:61], s[4:5], v[58:59]
	v_fma_f64 v[58:59], v[60:61], s[2:3], v[58:59]
	buffer_load_dword v60, off, s[28:31], 0 offset:588 ; 4-byte Folded Reload
	s_waitcnt vmcnt(0)
	ds_write_b128 v60, v[12:15]
	ds_write_b128 v60, v[8:11] offset:2160
	ds_write_b128 v60, v[16:19] offset:4320
	buffer_load_dword v8, off, s[28:31], 0 offset:592 ; 4-byte Folded Reload
	s_waitcnt vmcnt(0)
	ds_write_b128 v8, v[24:27]
	ds_write_b128 v8, v[20:23] offset:2160
	ds_write_b128 v8, v[28:31] offset:4320
	;; [unrolled: 5-line block ×5, first 2 shown]
	s_waitcnt lgkmcnt(0)
	s_barrier
	ds_read_b128 v[4:7], v125
	ds_read_b128 v[8:11], v125 offset:19440
	ds_read_b128 v[12:15], v125 offset:38880
	;; [unrolled: 1-line block ×14, first 2 shown]
	s_waitcnt lgkmcnt(13)
	v_mul_f64 v[60:61], v[222:223], v[10:11]
	s_waitcnt lgkmcnt(0)
	s_barrier
	v_fma_f64 v[60:61], v[220:221], v[8:9], v[60:61]
	v_mul_f64 v[8:9], v[222:223], v[8:9]
	v_fma_f64 v[62:63], v[220:221], v[10:11], -v[8:9]
	v_mul_f64 v[8:9], v[210:211], v[14:15]
	v_fma_f64 v[64:65], v[208:209], v[12:13], v[8:9]
	v_mul_f64 v[8:9], v[210:211], v[12:13]
	v_add_f64 v[10:11], v[60:61], v[64:65]
	v_fma_f64 v[14:15], v[208:209], v[14:15], -v[8:9]
	v_mul_f64 v[8:9], v[234:235], v[22:23]
	v_fma_f64 v[10:11], v[10:11], -0.5, v[4:5]
	v_add_f64 v[12:13], v[62:63], -v[14:15]
	v_fma_f64 v[66:67], v[232:233], v[20:21], v[8:9]
	v_mul_f64 v[8:9], v[234:235], v[20:21]
	v_add_f64 v[20:21], v[60:61], -v[64:65]
	v_fma_f64 v[68:69], v[232:233], v[22:23], -v[8:9]
	v_mul_f64 v[8:9], v[230:231], v[26:27]
	v_fma_f64 v[70:71], v[228:229], v[24:25], v[8:9]
	v_mul_f64 v[8:9], v[230:231], v[24:25]
	v_add_f64 v[22:23], v[66:67], v[70:71]
	v_fma_f64 v[26:27], v[228:229], v[26:27], -v[8:9]
	v_mul_f64 v[8:9], v[242:243], v[34:35]
	v_fma_f64 v[22:23], v[22:23], -0.5, v[16:17]
	v_add_f64 v[24:25], v[68:69], -v[26:27]
	v_fma_f64 v[72:73], v[240:241], v[32:33], v[8:9]
	v_mul_f64 v[8:9], v[242:243], v[32:33]
	v_add_f64 v[32:33], v[66:67], -v[70:71]
	;; [unrolled: 12-line block ×4, first 2 shown]
	v_fma_f64 v[109:110], v[109:110], v[54:55], -v[8:9]
	v_mul_f64 v[8:9], v[115:116], v[58:59]
	v_fma_f64 v[111:112], v[113:114], v[56:57], v[8:9]
	v_mul_f64 v[8:9], v[115:116], v[56:57]
	v_add_f64 v[54:55], v[131:132], v[111:112]
	v_fma_f64 v[58:59], v[113:114], v[58:59], -v[8:9]
	v_add_f64 v[8:9], v[4:5], v[60:61]
	v_fma_f64 v[4:5], v[12:13], s[2:3], v[10:11]
	v_fma_f64 v[12:13], v[12:13], s[4:5], v[10:11]
	v_add_f64 v[10:11], v[6:7], v[62:63]
	v_add_f64 v[60:61], v[131:132], -v[111:112]
	v_fma_f64 v[54:55], v[54:55], -0.5, v[0:1]
	v_add_f64 v[56:57], v[109:110], -v[58:59]
	v_add_f64 v[8:9], v[8:9], v[64:65]
	v_add_f64 v[10:11], v[10:11], v[14:15]
	v_add_f64 v[14:15], v[62:63], v[14:15]
	v_fma_f64 v[14:15], v[14:15], -0.5, v[6:7]
	v_fma_f64 v[6:7], v[20:21], s[4:5], v[14:15]
	v_fma_f64 v[14:15], v[20:21], s[2:3], v[14:15]
	ds_write_b128 v125, v[8:11]
	ds_write_b128 v125, v[4:7] offset:6480
	ds_write_b128 v125, v[12:15] offset:12960
	buffer_load_dword v4, off, s[28:31], 0 offset:608 ; 4-byte Folded Reload
	v_add_f64 v[20:21], v[16:17], v[66:67]
	v_fma_f64 v[16:17], v[24:25], s[2:3], v[22:23]
	v_fma_f64 v[24:25], v[24:25], s[4:5], v[22:23]
	v_add_f64 v[22:23], v[18:19], v[68:69]
	v_add_f64 v[20:21], v[20:21], v[70:71]
	;; [unrolled: 1-line block ×4, first 2 shown]
	v_fma_f64 v[26:27], v[26:27], -0.5, v[18:19]
	v_fma_f64 v[18:19], v[32:33], s[4:5], v[26:27]
	v_fma_f64 v[26:27], v[32:33], s[2:3], v[26:27]
	v_add_f64 v[32:33], v[28:29], v[72:73]
	v_fma_f64 v[28:29], v[36:37], s[2:3], v[34:35]
	v_fma_f64 v[36:37], v[36:37], s[4:5], v[34:35]
	v_add_f64 v[34:35], v[30:31], v[74:75]
	v_add_f64 v[32:33], v[32:33], v[76:77]
	;; [unrolled: 1-line block ×4, first 2 shown]
	v_fma_f64 v[38:39], v[38:39], -0.5, v[30:31]
	v_fma_f64 v[30:31], v[44:45], s[4:5], v[38:39]
	v_fma_f64 v[38:39], v[44:45], s[2:3], v[38:39]
	s_waitcnt vmcnt(0)
	ds_write_b128 v4, v[20:23]
	ds_write_b128 v4, v[16:19] offset:6480
	ds_write_b128 v4, v[24:27] offset:12960
	;; [unrolled: 1-line block ×5, first 2 shown]
	buffer_load_dword v4, off, s[28:31], 0 offset:612 ; 4-byte Folded Reload
	v_add_f64 v[44:45], v[40:41], v[78:79]
	v_fma_f64 v[40:41], v[48:49], s[2:3], v[46:47]
	v_fma_f64 v[48:49], v[48:49], s[4:5], v[46:47]
	v_add_f64 v[46:47], v[42:43], v[127:128]
	v_add_f64 v[44:45], v[44:45], v[129:130]
	;; [unrolled: 1-line block ×4, first 2 shown]
	v_fma_f64 v[50:51], v[50:51], -0.5, v[42:43]
	v_fma_f64 v[42:43], v[52:53], s[4:5], v[50:51]
	v_fma_f64 v[50:51], v[52:53], s[2:3], v[50:51]
	s_waitcnt vmcnt(0)
	ds_write_b128 v4, v[44:47]
	ds_write_b128 v4, v[40:43] offset:6480
	ds_write_b128 v4, v[48:51] offset:12960
	buffer_load_dword v4, off, s[28:31], 0 offset:616 ; 4-byte Folded Reload
	v_add_f64 v[52:53], v[0:1], v[131:132]
	v_fma_f64 v[0:1], v[56:57], s[2:3], v[54:55]
	v_fma_f64 v[56:57], v[56:57], s[4:5], v[54:55]
	v_add_f64 v[54:55], v[2:3], v[109:110]
	v_add_f64 v[52:53], v[52:53], v[111:112]
	v_add_f64 v[54:55], v[54:55], v[58:59]
	v_add_f64 v[58:59], v[109:110], v[58:59]
	v_fma_f64 v[58:59], v[58:59], -0.5, v[2:3]
	v_fma_f64 v[2:3], v[60:61], s[4:5], v[58:59]
	v_fma_f64 v[58:59], v[60:61], s[2:3], v[58:59]
	s_waitcnt vmcnt(0)
	ds_write_b128 v4, v[52:55] offset:38880
	ds_write_b128 v4, v[0:3] offset:45360
	;; [unrolled: 1-line block ×3, first 2 shown]
	s_waitcnt lgkmcnt(0)
	s_barrier
	ds_read_b128 v[4:7], v125
	ds_read_b128 v[8:11], v125 offset:19440
	ds_read_b128 v[12:15], v125 offset:38880
	;; [unrolled: 1-line block ×14, first 2 shown]
	s_waitcnt lgkmcnt(13)
	v_mul_f64 v[60:61], v[123:124], v[10:11]
	v_fma_f64 v[60:61], v[121:122], v[8:9], v[60:61]
	v_mul_f64 v[8:9], v[123:124], v[8:9]
	v_fma_f64 v[62:63], v[121:122], v[10:11], -v[8:9]
	s_waitcnt lgkmcnt(12)
	v_mul_f64 v[8:9], v[250:251], v[14:15]
	v_fma_f64 v[64:65], v[248:249], v[12:13], v[8:9]
	v_mul_f64 v[8:9], v[250:251], v[12:13]
	v_add_f64 v[10:11], v[60:61], v[64:65]
	v_fma_f64 v[14:15], v[248:249], v[14:15], -v[8:9]
	s_waitcnt lgkmcnt(10)
	v_mul_f64 v[8:9], v[107:108], v[22:23]
	v_fma_f64 v[10:11], v[10:11], -0.5, v[4:5]
	v_add_f64 v[12:13], v[62:63], -v[14:15]
	v_fma_f64 v[66:67], v[105:106], v[20:21], v[8:9]
	v_mul_f64 v[8:9], v[107:108], v[20:21]
	v_add_f64 v[20:21], v[60:61], -v[64:65]
	v_fma_f64 v[68:69], v[105:106], v[22:23], -v[8:9]
	s_waitcnt lgkmcnt(9)
	v_mul_f64 v[8:9], v[119:120], v[26:27]
	v_fma_f64 v[70:71], v[117:118], v[24:25], v[8:9]
	v_mul_f64 v[8:9], v[119:120], v[24:25]
	v_add_f64 v[22:23], v[66:67], v[70:71]
	v_fma_f64 v[26:27], v[117:118], v[26:27], -v[8:9]
	s_waitcnt lgkmcnt(7)
	v_mul_f64 v[8:9], v[99:100], v[34:35]
	v_fma_f64 v[22:23], v[22:23], -0.5, v[16:17]
	v_add_f64 v[24:25], v[68:69], -v[26:27]
	v_fma_f64 v[72:73], v[97:98], v[32:33], v[8:9]
	v_mul_f64 v[8:9], v[99:100], v[32:33]
	v_add_f64 v[32:33], v[66:67], -v[70:71]
	;; [unrolled: 14-line block ×4, first 2 shown]
	v_fma_f64 v[80:81], v[81:82], v[54:55], -v[8:9]
	s_waitcnt lgkmcnt(0)
	v_mul_f64 v[8:9], v[87:88], v[58:59]
	v_fma_f64 v[82:83], v[85:86], v[56:57], v[8:9]
	v_mul_f64 v[8:9], v[87:88], v[56:57]
	v_add_f64 v[54:55], v[93:94], v[82:83]
	v_fma_f64 v[58:59], v[85:86], v[58:59], -v[8:9]
	v_add_f64 v[8:9], v[4:5], v[60:61]
	v_fma_f64 v[4:5], v[12:13], s[2:3], v[10:11]
	v_fma_f64 v[12:13], v[12:13], s[4:5], v[10:11]
	v_add_f64 v[10:11], v[6:7], v[62:63]
	v_add_f64 v[60:61], v[93:94], -v[82:83]
	v_fma_f64 v[54:55], v[54:55], -0.5, v[0:1]
	v_add_f64 v[56:57], v[80:81], -v[58:59]
	v_add_f64 v[8:9], v[8:9], v[64:65]
	v_add_f64 v[10:11], v[10:11], v[14:15]
	v_add_f64 v[14:15], v[62:63], v[14:15]
	v_fma_f64 v[14:15], v[14:15], -0.5, v[6:7]
	v_fma_f64 v[6:7], v[20:21], s[4:5], v[14:15]
	v_fma_f64 v[14:15], v[20:21], s[2:3], v[14:15]
	v_add_f64 v[20:21], v[16:17], v[66:67]
	v_fma_f64 v[16:17], v[24:25], s[2:3], v[22:23]
	v_fma_f64 v[24:25], v[24:25], s[4:5], v[22:23]
	v_add_f64 v[22:23], v[18:19], v[68:69]
	v_add_f64 v[20:21], v[20:21], v[70:71]
	v_add_f64 v[22:23], v[22:23], v[26:27]
	v_add_f64 v[26:27], v[68:69], v[26:27]
	v_fma_f64 v[26:27], v[26:27], -0.5, v[18:19]
	v_fma_f64 v[18:19], v[32:33], s[4:5], v[26:27]
	v_fma_f64 v[26:27], v[32:33], s[2:3], v[26:27]
	v_add_f64 v[32:33], v[28:29], v[72:73]
	v_fma_f64 v[28:29], v[36:37], s[2:3], v[34:35]
	v_fma_f64 v[36:37], v[36:37], s[4:5], v[34:35]
	v_add_f64 v[34:35], v[30:31], v[74:75]
	v_add_f64 v[32:33], v[32:33], v[76:77]
	v_add_f64 v[34:35], v[34:35], v[38:39]
	v_add_f64 v[38:39], v[74:75], v[38:39]
	v_fma_f64 v[38:39], v[38:39], -0.5, v[30:31]
	v_fma_f64 v[30:31], v[44:45], s[4:5], v[38:39]
	v_fma_f64 v[38:39], v[44:45], s[2:3], v[38:39]
	v_add_f64 v[44:45], v[40:41], v[78:79]
	v_fma_f64 v[40:41], v[48:49], s[2:3], v[46:47]
	v_fma_f64 v[48:49], v[48:49], s[4:5], v[46:47]
	v_add_f64 v[46:47], v[42:43], v[89:90]
	v_add_f64 v[44:45], v[44:45], v[91:92]
	v_add_f64 v[46:47], v[46:47], v[50:51]
	v_add_f64 v[50:51], v[89:90], v[50:51]
	v_fma_f64 v[50:51], v[50:51], -0.5, v[42:43]
	v_fma_f64 v[42:43], v[52:53], s[4:5], v[50:51]
	v_fma_f64 v[50:51], v[52:53], s[2:3], v[50:51]
	v_add_f64 v[52:53], v[0:1], v[93:94]
	v_fma_f64 v[0:1], v[56:57], s[2:3], v[54:55]
	v_fma_f64 v[56:57], v[56:57], s[4:5], v[54:55]
	v_add_f64 v[54:55], v[2:3], v[80:81]
	v_add_f64 v[52:53], v[52:53], v[82:83]
	v_add_f64 v[54:55], v[54:55], v[58:59]
	;; [unrolled: 1-line block ×3, first 2 shown]
	v_fma_f64 v[58:59], v[58:59], -0.5, v[2:3]
	v_fma_f64 v[2:3], v[60:61], s[4:5], v[58:59]
	v_fma_f64 v[58:59], v[60:61], s[2:3], v[58:59]
	ds_write_b128 v125, v[8:11]
	ds_write_b128 v125, v[4:7] offset:19440
	ds_write_b128 v125, v[12:15] offset:38880
	;; [unrolled: 1-line block ×14, first 2 shown]
	s_waitcnt lgkmcnt(0)
	s_barrier
	ds_read_b128 v[0:3], v125
	buffer_load_dword v6, off, s[28:31], 0 offset:136 ; 4-byte Folded Reload
	buffer_load_dword v7, off, s[28:31], 0 offset:140 ; 4-byte Folded Reload
	;; [unrolled: 1-line block ×4, first 2 shown]
	s_mov_b32 s2, 0x8098d3d3
	s_mov_b32 s3, 0x3f31facd
	s_waitcnt vmcnt(0) lgkmcnt(0)
	v_mul_f64 v[4:5], v[8:9], v[2:3]
	v_fma_f64 v[4:5], v[6:7], v[0:1], v[4:5]
	v_mul_f64 v[0:1], v[8:9], v[0:1]
	v_mov_b32_e32 v8, s13
	v_mul_f64 v[4:5], v[4:5], s[2:3]
	v_fma_f64 v[0:1], v[6:7], v[2:3], -v[0:1]
	v_mul_f64 v[6:7], v[0:1], s[2:3]
	v_mad_u64_u32 v[0:1], s[4:5], s0, v126, 0
	v_mad_u64_u32 v[1:2], s[4:5], s1, v126, v[1:2]
	buffer_load_dword v2, off, s[28:31], 0 offset:16 ; 4-byte Folded Reload
	buffer_load_dword v3, off, s[28:31], 0 offset:20 ; 4-byte Folded Reload
	s_mul_i32 s4, s1, 0x2d90
	v_lshlrev_b64 v[0:1], 4, v[0:1]
	s_mul_hi_u32 s5, s0, 0x2d90
	s_add_i32 s4, s5, s4
	s_mul_i32 s5, s0, 0x2d90
	s_mul_i32 s1, s1, 0xffff58f0
	s_sub_i32 s1, s1, s0
	s_waitcnt vmcnt(0)
	v_lshlrev_b64 v[2:3], 4, v[2:3]
	v_add_co_u32_e32 v2, vcc, s12, v2
	v_addc_co_u32_e32 v3, vcc, v8, v3, vcc
	v_add_co_u32_e32 v8, vcc, v2, v0
	v_addc_co_u32_e32 v9, vcc, v3, v1, vcc
	global_store_dwordx4 v[8:9], v[4:7], off
	ds_read_b128 v[0:3], v125 offset:11664
	buffer_load_dword v10, off, s[28:31], 0 offset:168 ; 4-byte Folded Reload
	buffer_load_dword v11, off, s[28:31], 0 offset:172 ; 4-byte Folded Reload
	buffer_load_dword v12, off, s[28:31], 0 offset:176 ; 4-byte Folded Reload
	buffer_load_dword v13, off, s[28:31], 0 offset:180 ; 4-byte Folded Reload
	v_add_co_u32_e32 v8, vcc, s5, v8
	s_waitcnt vmcnt(0) lgkmcnt(0)
	v_mul_f64 v[4:5], v[12:13], v[2:3]
	v_fma_f64 v[4:5], v[10:11], v[0:1], v[4:5]
	v_mul_f64 v[0:1], v[12:13], v[0:1]
	v_mul_f64 v[4:5], v[4:5], s[2:3]
	v_fma_f64 v[0:1], v[10:11], v[2:3], -v[0:1]
	v_mul_f64 v[6:7], v[0:1], s[2:3]
	v_mov_b32_e32 v0, s4
	v_addc_co_u32_e32 v9, vcc, v9, v0, vcc
	ds_read_b128 v[0:3], v125 offset:23328
	global_store_dwordx4 v[8:9], v[4:7], off
	buffer_load_dword v10, off, s[28:31], 0 offset:200 ; 4-byte Folded Reload
	buffer_load_dword v11, off, s[28:31], 0 offset:204 ; 4-byte Folded Reload
	buffer_load_dword v12, off, s[28:31], 0 offset:208 ; 4-byte Folded Reload
	buffer_load_dword v13, off, s[28:31], 0 offset:212 ; 4-byte Folded Reload
	v_add_co_u32_e32 v8, vcc, s5, v8
	s_waitcnt vmcnt(0) lgkmcnt(0)
	v_mul_f64 v[4:5], v[12:13], v[2:3]
	v_fma_f64 v[4:5], v[10:11], v[0:1], v[4:5]
	v_mul_f64 v[0:1], v[12:13], v[0:1]
	v_mul_f64 v[4:5], v[4:5], s[2:3]
	v_fma_f64 v[0:1], v[10:11], v[2:3], -v[0:1]
	v_mul_f64 v[6:7], v[0:1], s[2:3]
	v_mov_b32_e32 v0, s4
	v_addc_co_u32_e32 v9, vcc, v9, v0, vcc
	ds_read_b128 v[0:3], v125 offset:34992
	global_store_dwordx4 v[8:9], v[4:7], off
	;; [unrolled: 16-line block ×4, first 2 shown]
	buffer_load_dword v10, off, s[28:31], 0 offset:72 ; 4-byte Folded Reload
	buffer_load_dword v11, off, s[28:31], 0 offset:76 ; 4-byte Folded Reload
	;; [unrolled: 1-line block ×4, first 2 shown]
	s_waitcnt vmcnt(0) lgkmcnt(0)
	v_mul_f64 v[4:5], v[12:13], v[2:3]
	v_fma_f64 v[4:5], v[10:11], v[0:1], v[4:5]
	v_mul_f64 v[0:1], v[12:13], v[0:1]
	v_mul_f64 v[4:5], v[4:5], s[2:3]
	v_fma_f64 v[0:1], v[10:11], v[2:3], -v[0:1]
	v_mov_b32_e32 v10, 0xffff58f0
	v_mad_u64_u32 v[8:9], s[6:7], s0, v10, v[8:9]
	v_add_u32_e32 v9, s1, v9
	v_mul_f64 v[6:7], v[0:1], s[2:3]
	ds_read_b128 v[0:3], v125 offset:15552
	global_store_dwordx4 v[8:9], v[4:7], off
	buffer_load_dword v11, off, s[28:31], 0 offset:104 ; 4-byte Folded Reload
	buffer_load_dword v12, off, s[28:31], 0 offset:108 ; 4-byte Folded Reload
	buffer_load_dword v13, off, s[28:31], 0 offset:112 ; 4-byte Folded Reload
	buffer_load_dword v14, off, s[28:31], 0 offset:116 ; 4-byte Folded Reload
	v_add_co_u32_e32 v8, vcc, s5, v8
	s_waitcnt vmcnt(0) lgkmcnt(0)
	v_mul_f64 v[4:5], v[13:14], v[2:3]
	v_fma_f64 v[4:5], v[11:12], v[0:1], v[4:5]
	v_mul_f64 v[0:1], v[13:14], v[0:1]
	v_mul_f64 v[4:5], v[4:5], s[2:3]
	v_fma_f64 v[0:1], v[11:12], v[2:3], -v[0:1]
	v_mul_f64 v[6:7], v[0:1], s[2:3]
	v_mov_b32_e32 v0, s4
	v_addc_co_u32_e32 v9, vcc, v9, v0, vcc
	ds_read_b128 v[0:3], v125 offset:27216
	global_store_dwordx4 v[8:9], v[4:7], off
	buffer_load_dword v11, off, s[28:31], 0 offset:120 ; 4-byte Folded Reload
	buffer_load_dword v12, off, s[28:31], 0 offset:124 ; 4-byte Folded Reload
	buffer_load_dword v13, off, s[28:31], 0 offset:128 ; 4-byte Folded Reload
	buffer_load_dword v14, off, s[28:31], 0 offset:132 ; 4-byte Folded Reload
	v_add_co_u32_e32 v8, vcc, s5, v8
	s_waitcnt vmcnt(0) lgkmcnt(0)
	v_mul_f64 v[4:5], v[13:14], v[2:3]
	v_fma_f64 v[4:5], v[11:12], v[0:1], v[4:5]
	v_mul_f64 v[0:1], v[13:14], v[0:1]
	v_mul_f64 v[4:5], v[4:5], s[2:3]
	v_fma_f64 v[0:1], v[11:12], v[2:3], -v[0:1]
	v_mul_f64 v[6:7], v[0:1], s[2:3]
	v_mov_b32_e32 v0, s4
	v_addc_co_u32_e32 v9, vcc, v9, v0, vcc
	;; [unrolled: 16-line block ×4, first 2 shown]
	ds_read_b128 v[0:3], v125 offset:7776
	global_store_dwordx4 v[8:9], v[4:7], off
	buffer_load_dword v11, off, s[28:31], 0 offset:40 ; 4-byte Folded Reload
	buffer_load_dword v12, off, s[28:31], 0 offset:44 ; 4-byte Folded Reload
	;; [unrolled: 1-line block ×4, first 2 shown]
	v_mad_u64_u32 v[8:9], s[6:7], s0, v10, v[8:9]
	v_add_u32_e32 v9, s1, v9
	s_waitcnt vmcnt(0) lgkmcnt(0)
	v_mul_f64 v[4:5], v[13:14], v[2:3]
	v_fma_f64 v[4:5], v[11:12], v[0:1], v[4:5]
	v_mul_f64 v[0:1], v[13:14], v[0:1]
	v_mul_f64 v[4:5], v[4:5], s[2:3]
	v_fma_f64 v[0:1], v[11:12], v[2:3], -v[0:1]
	v_mul_f64 v[6:7], v[0:1], s[2:3]
	ds_read_b128 v[0:3], v125 offset:19440
	global_store_dwordx4 v[8:9], v[4:7], off
	buffer_load_dword v10, off, s[28:31], 0 offset:56 ; 4-byte Folded Reload
	buffer_load_dword v11, off, s[28:31], 0 offset:60 ; 4-byte Folded Reload
	;; [unrolled: 1-line block ×4, first 2 shown]
	v_add_co_u32_e32 v8, vcc, s5, v8
	s_waitcnt vmcnt(0) lgkmcnt(0)
	v_mul_f64 v[4:5], v[12:13], v[2:3]
	v_fma_f64 v[4:5], v[10:11], v[0:1], v[4:5]
	v_mul_f64 v[0:1], v[12:13], v[0:1]
	v_mul_f64 v[4:5], v[4:5], s[2:3]
	v_fma_f64 v[0:1], v[10:11], v[2:3], -v[0:1]
	v_mul_f64 v[6:7], v[0:1], s[2:3]
	v_mov_b32_e32 v0, s4
	v_addc_co_u32_e32 v9, vcc, v9, v0, vcc
	ds_read_b128 v[0:3], v125 offset:31104
	global_store_dwordx4 v[8:9], v[4:7], off
	buffer_load_dword v10, off, s[28:31], 0 offset:88 ; 4-byte Folded Reload
	buffer_load_dword v11, off, s[28:31], 0 offset:92 ; 4-byte Folded Reload
	;; [unrolled: 1-line block ×4, first 2 shown]
	v_add_co_u32_e32 v8, vcc, s5, v8
	s_waitcnt vmcnt(0) lgkmcnt(0)
	v_mul_f64 v[4:5], v[12:13], v[2:3]
	v_fma_f64 v[4:5], v[10:11], v[0:1], v[4:5]
	v_mul_f64 v[0:1], v[12:13], v[0:1]
	v_mul_f64 v[4:5], v[4:5], s[2:3]
	v_fma_f64 v[0:1], v[10:11], v[2:3], -v[0:1]
	v_mul_f64 v[6:7], v[0:1], s[2:3]
	v_mov_b32_e32 v0, s4
	v_addc_co_u32_e32 v9, vcc, v9, v0, vcc
	ds_read_b128 v[0:3], v125 offset:42768
	global_store_dwordx4 v[8:9], v[4:7], off
	buffer_load_dword v10, off, s[28:31], 0 ; 4-byte Folded Reload
	buffer_load_dword v11, off, s[28:31], 0 offset:4 ; 4-byte Folded Reload
	buffer_load_dword v12, off, s[28:31], 0 offset:8 ; 4-byte Folded Reload
	buffer_load_dword v13, off, s[28:31], 0 offset:12 ; 4-byte Folded Reload
	v_add_co_u32_e32 v8, vcc, s5, v8
	s_waitcnt vmcnt(0) lgkmcnt(0)
	v_mul_f64 v[4:5], v[12:13], v[2:3]
	v_fma_f64 v[4:5], v[10:11], v[0:1], v[4:5]
	v_mul_f64 v[0:1], v[12:13], v[0:1]
	v_mul_f64 v[4:5], v[4:5], s[2:3]
	v_fma_f64 v[0:1], v[10:11], v[2:3], -v[0:1]
	v_mul_f64 v[6:7], v[0:1], s[2:3]
	v_mov_b32_e32 v0, s4
	v_addc_co_u32_e32 v9, vcc, v9, v0, vcc
	ds_read_b128 v[0:3], v125 offset:54432
	global_store_dwordx4 v[8:9], v[4:7], off
	buffer_load_dword v10, off, s[28:31], 0 offset:24 ; 4-byte Folded Reload
	buffer_load_dword v11, off, s[28:31], 0 offset:28 ; 4-byte Folded Reload
	;; [unrolled: 1-line block ×4, first 2 shown]
	s_waitcnt vmcnt(0) lgkmcnt(0)
	v_mul_f64 v[4:5], v[12:13], v[2:3]
	v_fma_f64 v[4:5], v[10:11], v[0:1], v[4:5]
	v_mul_f64 v[0:1], v[12:13], v[0:1]
	v_mul_f64 v[4:5], v[4:5], s[2:3]
	v_fma_f64 v[0:1], v[10:11], v[2:3], -v[0:1]
	v_mul_f64 v[6:7], v[0:1], s[2:3]
	v_add_co_u32_e32 v0, vcc, s5, v8
	v_mov_b32_e32 v1, s4
	v_addc_co_u32_e32 v1, vcc, v9, v1, vcc
	global_store_dwordx4 v[0:1], v[4:7], off
.LBB0_2:
	s_endpgm
	.section	.rodata,"a",@progbits
	.p2align	6, 0x0
	.amdhsa_kernel bluestein_single_back_len3645_dim1_dp_op_CI_CI
		.amdhsa_group_segment_fixed_size 58320
		.amdhsa_private_segment_fixed_size 624
		.amdhsa_kernarg_size 104
		.amdhsa_user_sgpr_count 6
		.amdhsa_user_sgpr_private_segment_buffer 1
		.amdhsa_user_sgpr_dispatch_ptr 0
		.amdhsa_user_sgpr_queue_ptr 0
		.amdhsa_user_sgpr_kernarg_segment_ptr 1
		.amdhsa_user_sgpr_dispatch_id 0
		.amdhsa_user_sgpr_flat_scratch_init 0
		.amdhsa_user_sgpr_private_segment_size 0
		.amdhsa_uses_dynamic_stack 0
		.amdhsa_system_sgpr_private_segment_wavefront_offset 1
		.amdhsa_system_sgpr_workgroup_id_x 1
		.amdhsa_system_sgpr_workgroup_id_y 0
		.amdhsa_system_sgpr_workgroup_id_z 0
		.amdhsa_system_sgpr_workgroup_info 0
		.amdhsa_system_vgpr_workitem_id 0
		.amdhsa_next_free_vgpr 256
		.amdhsa_next_free_sgpr 32
		.amdhsa_reserve_vcc 1
		.amdhsa_reserve_flat_scratch 0
		.amdhsa_float_round_mode_32 0
		.amdhsa_float_round_mode_16_64 0
		.amdhsa_float_denorm_mode_32 3
		.amdhsa_float_denorm_mode_16_64 3
		.amdhsa_dx10_clamp 1
		.amdhsa_ieee_mode 1
		.amdhsa_fp16_overflow 0
		.amdhsa_exception_fp_ieee_invalid_op 0
		.amdhsa_exception_fp_denorm_src 0
		.amdhsa_exception_fp_ieee_div_zero 0
		.amdhsa_exception_fp_ieee_overflow 0
		.amdhsa_exception_fp_ieee_underflow 0
		.amdhsa_exception_fp_ieee_inexact 0
		.amdhsa_exception_int_div_zero 0
	.end_amdhsa_kernel
	.text
.Lfunc_end0:
	.size	bluestein_single_back_len3645_dim1_dp_op_CI_CI, .Lfunc_end0-bluestein_single_back_len3645_dim1_dp_op_CI_CI
                                        ; -- End function
	.section	.AMDGPU.csdata,"",@progbits
; Kernel info:
; codeLenInByte = 26044
; NumSgprs: 36
; NumVgprs: 256
; ScratchSize: 624
; MemoryBound: 0
; FloatMode: 240
; IeeeMode: 1
; LDSByteSize: 58320 bytes/workgroup (compile time only)
; SGPRBlocks: 4
; VGPRBlocks: 63
; NumSGPRsForWavesPerEU: 36
; NumVGPRsForWavesPerEU: 256
; Occupancy: 1
; WaveLimiterHint : 1
; COMPUTE_PGM_RSRC2:SCRATCH_EN: 1
; COMPUTE_PGM_RSRC2:USER_SGPR: 6
; COMPUTE_PGM_RSRC2:TRAP_HANDLER: 0
; COMPUTE_PGM_RSRC2:TGID_X_EN: 1
; COMPUTE_PGM_RSRC2:TGID_Y_EN: 0
; COMPUTE_PGM_RSRC2:TGID_Z_EN: 0
; COMPUTE_PGM_RSRC2:TIDIG_COMP_CNT: 0
	.type	__hip_cuid_4ecde7ad38b2bfa5,@object ; @__hip_cuid_4ecde7ad38b2bfa5
	.section	.bss,"aw",@nobits
	.globl	__hip_cuid_4ecde7ad38b2bfa5
__hip_cuid_4ecde7ad38b2bfa5:
	.byte	0                               ; 0x0
	.size	__hip_cuid_4ecde7ad38b2bfa5, 1

	.ident	"AMD clang version 19.0.0git (https://github.com/RadeonOpenCompute/llvm-project roc-6.4.0 25133 c7fe45cf4b819c5991fe208aaa96edf142730f1d)"
	.section	".note.GNU-stack","",@progbits
	.addrsig
	.addrsig_sym __hip_cuid_4ecde7ad38b2bfa5
	.amdgpu_metadata
---
amdhsa.kernels:
  - .args:
      - .actual_access:  read_only
        .address_space:  global
        .offset:         0
        .size:           8
        .value_kind:     global_buffer
      - .actual_access:  read_only
        .address_space:  global
        .offset:         8
        .size:           8
        .value_kind:     global_buffer
      - .actual_access:  read_only
        .address_space:  global
        .offset:         16
        .size:           8
        .value_kind:     global_buffer
      - .actual_access:  read_only
        .address_space:  global
        .offset:         24
        .size:           8
        .value_kind:     global_buffer
      - .actual_access:  read_only
        .address_space:  global
        .offset:         32
        .size:           8
        .value_kind:     global_buffer
      - .offset:         40
        .size:           8
        .value_kind:     by_value
      - .address_space:  global
        .offset:         48
        .size:           8
        .value_kind:     global_buffer
      - .address_space:  global
        .offset:         56
        .size:           8
        .value_kind:     global_buffer
      - .address_space:  global
        .offset:         64
        .size:           8
        .value_kind:     global_buffer
      - .address_space:  global
        .offset:         72
        .size:           8
        .value_kind:     global_buffer
      - .offset:         80
        .size:           4
        .value_kind:     by_value
      - .address_space:  global
        .offset:         88
        .size:           8
        .value_kind:     global_buffer
      - .address_space:  global
        .offset:         96
        .size:           8
        .value_kind:     global_buffer
    .group_segment_fixed_size: 58320
    .kernarg_segment_align: 8
    .kernarg_segment_size: 104
    .language:       OpenCL C
    .language_version:
      - 2
      - 0
    .max_flat_workgroup_size: 243
    .name:           bluestein_single_back_len3645_dim1_dp_op_CI_CI
    .private_segment_fixed_size: 624
    .sgpr_count:     36
    .sgpr_spill_count: 0
    .symbol:         bluestein_single_back_len3645_dim1_dp_op_CI_CI.kd
    .uniform_work_group_size: 1
    .uses_dynamic_stack: false
    .vgpr_count:     256
    .vgpr_spill_count: 155
    .wavefront_size: 64
amdhsa.target:   amdgcn-amd-amdhsa--gfx906
amdhsa.version:
  - 1
  - 2
...

	.end_amdgpu_metadata
